;; amdgpu-corpus repo=ROCm/rocFFT kind=compiled arch=gfx1030 opt=O3
	.text
	.amdgcn_target "amdgcn-amd-amdhsa--gfx1030"
	.amdhsa_code_object_version 6
	.protected	bluestein_single_fwd_len935_dim1_dp_op_CI_CI ; -- Begin function bluestein_single_fwd_len935_dim1_dp_op_CI_CI
	.globl	bluestein_single_fwd_len935_dim1_dp_op_CI_CI
	.p2align	8
	.type	bluestein_single_fwd_len935_dim1_dp_op_CI_CI,@function
bluestein_single_fwd_len935_dim1_dp_op_CI_CI: ; @bluestein_single_fwd_len935_dim1_dp_op_CI_CI
; %bb.0:
	s_mov_b64 s[62:63], s[2:3]
	s_mov_b64 s[60:61], s[0:1]
	s_load_dwordx4 s[0:3], s[4:5], 0x28
	v_mul_u32_u24_e32 v1, 0x304, v0
	s_add_u32 s60, s60, s7
	s_addc_u32 s61, s61, 0
	v_lshrrev_b32_e32 v1, 16, v1
	v_mad_u64_u32 v[3:4], null, s6, 3, v[1:2]
	v_mov_b32_e32 v4, 0
	s_waitcnt lgkmcnt(0)
	v_cmp_gt_u64_e32 vcc_lo, s[0:1], v[3:4]
	s_and_saveexec_b32 s0, vcc_lo
	s_cbranch_execz .LBB0_23
; %bb.1:
	v_mul_hi_u32 v2, 0xaaaaaaab, v3
	v_mul_lo_u16 v1, 0x55, v1
	s_clause 0x1
	s_load_dwordx2 s[12:13], s[4:5], 0x0
	s_load_dwordx2 s[14:15], s[4:5], 0x38
	v_sub_nc_u16 v0, v0, v1
	v_mov_b32_e32 v1, v3
	v_lshrrev_b32_e32 v2, 1, v2
	v_cmp_gt_u16_e32 vcc_lo, 55, v0
	v_lshl_add_u32 v2, v2, 1, v2
	buffer_store_dword v1, off, s[60:63], 0 offset:12 ; 4-byte Folded Spill
	buffer_store_dword v2, off, s[60:63], 0 offset:16 ; 4-byte Folded Spill
	v_sub_nc_u32_e32 v1, v3, v2
	v_and_b32_e32 v2, 0xffff, v0
	v_mul_u32_u24_e32 v1, 0x3a7, v1
	buffer_store_dword v2, off, s[60:63], 0 ; 4-byte Folded Spill
	v_lshlrev_b32_e32 v0, 4, v1
	buffer_store_dword v1, off, s[60:63], 0 offset:4 ; 4-byte Folded Spill
	buffer_store_dword v0, off, s[60:63], 0 offset:8 ; 4-byte Folded Spill
	s_and_saveexec_b32 s1, vcc_lo
	s_cbranch_execz .LBB0_3
; %bb.2:
	buffer_load_dword v149, off, s[60:63], 0 ; 4-byte Folded Reload
	s_load_dwordx2 s[6:7], s[4:5], 0x18
	s_waitcnt lgkmcnt(0)
	s_load_dwordx4 s[8:11], s[6:7], 0x0
	s_waitcnt lgkmcnt(0)
	s_mul_i32 s6, s9, 0x370
	s_mul_hi_u32 s7, s8, 0x370
	s_add_i32 s7, s7, s6
	s_waitcnt vmcnt(0)
	v_lshlrev_b32_e32 v148, 4, v149
	v_mad_u64_u32 v[40:41], null, s8, v149, 0
	s_clause 0x2
	global_load_dwordx4 v[0:3], v148, s[12:13]
	global_load_dwordx4 v[4:7], v148, s[12:13] offset:880
	global_load_dwordx4 v[8:11], v148, s[12:13] offset:1760
	s_clause 0x1
	buffer_load_dword v12, off, s[60:63], 0 offset:12
	buffer_load_dword v13, off, s[60:63], 0 offset:16
	v_add_co_u32 v14, s0, s12, v148
	s_waitcnt vmcnt(0)
	v_mov_b32_e32 v13, v41
	v_add_co_ci_u32_e64 v15, null, s13, 0, s0
	v_add_co_u32 v16, s0, 0x800, v14
	v_mad_u64_u32 v[41:42], null, s9, v149, v[13:14]
	v_add_co_ci_u32_e64 v17, s0, 0, v15, s0
	v_add_co_u32 v24, s0, 0x1000, v14
	v_add_co_ci_u32_e64 v25, s0, 0, v15, s0
	v_add_co_u32 v38, s0, 0x1800, v14
	;; [unrolled: 2-line block ×5, first 2 shown]
	v_add_co_ci_u32_e64 v129, s0, 0, v15, s0
	v_lshlrev_b64 v[40:41], 4, v[40:41]
	v_mov_b32_e32 v18, v12
	v_mad_u64_u32 v[36:37], null, s10, v18, 0
	v_mov_b32_e32 v12, v37
	v_mad_u64_u32 v[20:21], null, s11, v18, v[12:13]
	s_clause 0x1
	global_load_dwordx4 v[12:15], v[16:17], off offset:592
	global_load_dwordx4 v[16:19], v[16:17], off offset:1472
	v_mov_b32_e32 v37, v20
	s_clause 0x3
	global_load_dwordx4 v[20:23], v[24:25], off offset:304
	global_load_dwordx4 v[24:27], v[24:25], off offset:1184
	;; [unrolled: 1-line block ×4, first 2 shown]
	v_lshlrev_b64 v[42:43], 4, v[36:37]
	global_load_dwordx4 v[36:39], v[38:39], off offset:1776
	v_add_co_u32 v42, s0, s2, v42
	v_add_co_ci_u32_e64 v43, s0, s3, v43, s0
	s_mul_i32 s2, s8, 0x370
	v_add_co_u32 v56, s0, v42, v40
	v_add_co_ci_u32_e64 v57, s0, v43, v41, s0
	s_clause 0x1
	global_load_dwordx4 v[40:43], v[44:45], off offset:608
	global_load_dwordx4 v[44:47], v[44:45], off offset:1488
	v_add_co_u32 v60, s0, v56, s2
	v_add_co_ci_u32_e64 v61, s0, s7, v57, s0
	s_clause 0x1
	global_load_dwordx4 v[48:51], v[52:53], off offset:320
	global_load_dwordx4 v[52:55], v[52:53], off offset:1200
	v_add_co_u32 v64, s0, v60, s2
	v_add_co_ci_u32_e64 v65, s0, s7, v61, s0
	s_clause 0x1
	global_load_dwordx4 v[56:59], v[56:57], off
	global_load_dwordx4 v[60:63], v[60:61], off
	v_add_co_u32 v68, s0, v64, s2
	v_add_co_ci_u32_e64 v69, s0, s7, v65, s0
	v_add_co_u32 v72, s0, v68, s2
	v_add_co_ci_u32_e64 v73, s0, s7, v69, s0
	s_clause 0x1
	global_load_dwordx4 v[64:67], v[64:65], off
	global_load_dwordx4 v[68:71], v[68:69], off
	v_add_co_u32 v76, s0, v72, s2
	v_add_co_ci_u32_e64 v77, s0, s7, v73, s0
	global_load_dwordx4 v[72:75], v[72:73], off
	v_add_co_u32 v80, s0, v76, s2
	v_add_co_ci_u32_e64 v81, s0, s7, v77, s0
	;; [unrolled: 3-line block ×12, first 2 shown]
	s_clause 0x1
	global_load_dwordx4 v[116:119], v[128:129], off offset:32
	global_load_dwordx4 v[120:123], v[128:129], off offset:912
	global_load_dwordx4 v[124:127], v[124:125], off
	global_load_dwordx4 v[128:131], v[128:129], off offset:1792
	global_load_dwordx4 v[132:135], v[132:133], off
	s_waitcnt vmcnt(19)
	v_mul_f64 v[136:137], v[58:59], v[2:3]
	v_mul_f64 v[2:3], v[56:57], v[2:3]
	s_waitcnt vmcnt(18)
	v_mul_f64 v[138:139], v[62:63], v[6:7]
	v_mul_f64 v[6:7], v[60:61], v[6:7]
	;; [unrolled: 3-line block ×6, first 2 shown]
	v_fma_f64 v[56:57], v[56:57], v[0:1], v[136:137]
	v_fma_f64 v[58:59], v[58:59], v[0:1], -v[2:3]
	v_fma_f64 v[0:1], v[60:61], v[4:5], v[138:139]
	v_fma_f64 v[2:3], v[62:63], v[4:5], -v[6:7]
	s_waitcnt vmcnt(13)
	v_mul_f64 v[60:61], v[82:83], v[26:27]
	v_mul_f64 v[26:27], v[80:81], v[26:27]
	s_waitcnt vmcnt(12)
	v_mul_f64 v[62:63], v[86:87], v[30:31]
	v_fma_f64 v[4:5], v[64:65], v[8:9], v[140:141]
	v_fma_f64 v[6:7], v[66:67], v[8:9], -v[10:11]
	v_mul_f64 v[30:31], v[84:85], v[30:31]
	v_fma_f64 v[8:9], v[68:69], v[12:13], v[142:143]
	s_waitcnt vmcnt(11)
	v_mul_f64 v[64:65], v[90:91], v[34:35]
	v_mul_f64 v[34:35], v[88:89], v[34:35]
	v_fma_f64 v[10:11], v[70:71], v[12:13], -v[14:15]
	v_fma_f64 v[12:13], v[72:73], v[16:17], v[144:145]
	v_fma_f64 v[14:15], v[74:75], v[16:17], -v[18:19]
	s_waitcnt vmcnt(10)
	v_mul_f64 v[66:67], v[94:95], v[38:39]
	v_mul_f64 v[38:39], v[92:93], v[38:39]
	v_fma_f64 v[16:17], v[76:77], v[20:21], v[146:147]
	v_fma_f64 v[18:19], v[78:79], v[20:21], -v[22:23]
	s_waitcnt vmcnt(9)
	v_mul_f64 v[68:69], v[98:99], v[42:43]
	v_mul_f64 v[42:43], v[96:97], v[42:43]
	;; [unrolled: 5-line block ×3, first 2 shown]
	v_fma_f64 v[24:25], v[84:85], v[28:29], v[62:63]
	v_fma_f64 v[26:27], v[86:87], v[28:29], -v[30:31]
	s_waitcnt vmcnt(7)
	v_mul_f64 v[72:73], v[106:107], v[50:51]
	v_fma_f64 v[28:29], v[88:89], v[32:33], v[64:65]
	v_fma_f64 v[30:31], v[90:91], v[32:33], -v[34:35]
	v_mul_f64 v[50:51], v[104:105], v[50:51]
	s_waitcnt vmcnt(6)
	v_mul_f64 v[74:75], v[110:111], v[54:55]
	v_mul_f64 v[54:55], v[108:109], v[54:55]
	v_fma_f64 v[32:33], v[92:93], v[36:37], v[66:67]
	v_fma_f64 v[34:35], v[94:95], v[36:37], -v[38:39]
	s_waitcnt vmcnt(4)
	v_mul_f64 v[76:77], v[114:115], v[118:119]
	v_fma_f64 v[36:37], v[96:97], v[40:41], v[68:69]
	buffer_load_dword v69, off, s[60:63], 0 offset:8 ; 4-byte Folded Reload
	v_mul_f64 v[78:79], v[112:113], v[118:119]
	s_waitcnt vmcnt(3)
	v_mul_f64 v[118:119], v[126:127], v[122:123]
	v_mul_f64 v[122:123], v[124:125], v[122:123]
	s_waitcnt vmcnt(1)
	v_mul_f64 v[136:137], v[134:135], v[130:131]
	v_mul_f64 v[130:131], v[132:133], v[130:131]
	v_fma_f64 v[38:39], v[98:99], v[40:41], -v[42:43]
	v_fma_f64 v[40:41], v[100:101], v[44:45], v[70:71]
	v_fma_f64 v[42:43], v[102:103], v[44:45], -v[46:47]
	v_fma_f64 v[44:45], v[104:105], v[48:49], v[72:73]
	;; [unrolled: 2-line block ×6, first 2 shown]
	v_fma_f64 v[66:67], v[134:135], v[128:129], -v[130:131]
	s_waitcnt vmcnt(0)
	v_lshl_add_u32 v68, v149, 4, v69
	v_add_nc_u32_e32 v69, v69, v148
	ds_write_b128 v68, v[56:59]
	ds_write_b128 v69, v[0:3] offset:880
	ds_write_b128 v69, v[4:7] offset:1760
	;; [unrolled: 1-line block ×16, first 2 shown]
.LBB0_3:
	s_or_b32 exec_lo, exec_lo, s1
	s_clause 0x1
	s_load_dwordx2 s[0:1], s[4:5], 0x20
	s_load_dwordx2 s[2:3], s[4:5], 0x8
	s_waitcnt lgkmcnt(0)
	s_waitcnt_vscnt null, 0x0
	s_barrier
	buffer_gl0_inv
                                        ; implicit-def: $vgpr12_vgpr13
                                        ; implicit-def: $vgpr28_vgpr29
                                        ; implicit-def: $vgpr36_vgpr37
                                        ; implicit-def: $vgpr40_vgpr41
                                        ; implicit-def: $vgpr44_vgpr45
                                        ; implicit-def: $vgpr48_vgpr49
                                        ; implicit-def: $vgpr52_vgpr53
                                        ; implicit-def: $vgpr56_vgpr57
                                        ; implicit-def: $vgpr60_vgpr61
                                        ; implicit-def: $vgpr64_vgpr65
                                        ; implicit-def: $vgpr68_vgpr69
                                        ; implicit-def: $vgpr72_vgpr73
                                        ; implicit-def: $vgpr32_vgpr33
                                        ; implicit-def: $vgpr24_vgpr25
                                        ; implicit-def: $vgpr20_vgpr21
                                        ; implicit-def: $vgpr16_vgpr17
                                        ; implicit-def: $vgpr8_vgpr9
	s_and_saveexec_b32 s4, vcc_lo
	s_cbranch_execz .LBB0_5
; %bb.4:
	s_clause 0x1
	buffer_load_dword v0, off, s[60:63], 0
	buffer_load_dword v1, off, s[60:63], 0 offset:4
	s_waitcnt vmcnt(1)
	v_lshlrev_b32_e32 v0, 4, v0
	s_waitcnt vmcnt(0)
	v_lshl_add_u32 v0, v1, 4, v0
	ds_read_b128 v[12:15], v0
	ds_read_b128 v[28:31], v0 offset:880
	ds_read_b128 v[36:39], v0 offset:1760
	;; [unrolled: 1-line block ×16, first 2 shown]
.LBB0_5:
	s_or_b32 exec_lo, exec_lo, s4
	s_waitcnt lgkmcnt(0)
	v_add_f64 v[116:117], v[30:31], -v[10:11]
	v_add_f64 v[124:125], v[28:29], -v[8:9]
	s_mov_b32 s10, 0x5d8e7cdc
	s_mov_b32 s11, 0xbfd71e95
	v_add_f64 v[76:77], v[38:39], -v[18:19]
	v_add_f64 v[94:95], v[36:37], -v[16:17]
	s_mov_b32 s24, 0x2a9d6da3
	s_mov_b32 s25, 0xbfe58eea
	;; [unrolled: 4-line block ×4, first 2 shown]
	v_add_f64 v[112:113], v[28:29], v[8:9]
	v_add_f64 v[142:143], v[30:31], v[10:11]
	s_mov_b32 s8, 0x370991
	s_mov_b32 s9, 0x3fedd6d0
	v_add_f64 v[78:79], v[36:37], v[16:17]
	v_add_f64 v[118:119], v[38:39], v[18:19]
	v_mul_f64 v[0:1], v[116:117], s[10:11]
	v_mul_f64 v[2:3], v[124:125], s[10:11]
	s_mov_b32 s20, 0x75d4884
	s_mov_b32 s21, 0x3fe7a5f6
	v_mul_f64 v[4:5], v[76:77], s[24:25]
	v_mul_f64 v[6:7], v[94:95], s[24:25]
	v_add_f64 v[90:91], v[42:43], v[22:23]
	s_mov_b32 s22, 0x2b2883cd
	v_mul_f64 v[80:81], v[82:83], s[28:29]
	v_mul_f64 v[86:87], v[134:135], s[28:29]
	s_mov_b32 s23, 0x3fdc86fa
	v_add_f64 v[136:137], v[46:47], v[26:27]
	v_mul_f64 v[92:93], v[126:127], s[4:5]
	v_mul_f64 v[96:97], v[146:147], s[4:5]
	s_mov_b32 s6, 0x3259b75e
	s_mov_b32 s7, 0x3fb79ee6
	v_add_f64 v[152:153], v[50:51], -v[34:35]
	s_mov_b32 s18, 0x923c349f
	s_mov_b32 s19, 0xbfeec746
	v_add_f64 v[84:85], v[40:41], v[20:21]
	v_add_f64 v[88:89], v[44:45], v[24:25]
	;; [unrolled: 1-line block ×3, first 2 shown]
	buffer_store_dword v0, off, s[60:63], 0 offset:148 ; 4-byte Folded Spill
	buffer_store_dword v1, off, s[60:63], 0 offset:152 ; 4-byte Folded Spill
	;; [unrolled: 1-line block ×16, first 2 shown]
	s_mov_b32 s16, 0xc61f0d01
	s_mov_b32 s17, 0xbfd183b1
	v_add_f64 v[207:208], v[48:49], -v[32:33]
	v_add_f64 v[158:159], v[50:51], v[34:35]
	v_add_f64 v[173:174], v[54:55], -v[74:75]
	s_mov_b32 s40, 0x6c9a05f6
	s_mov_b32 s41, 0xbfe9895b
	v_add_f64 v[154:155], v[52:53], v[72:73]
	s_mov_b32 s30, 0x6ed5f1bb
	s_mov_b32 s31, 0xbfe348c8
	v_add_f64 v[215:216], v[52:53], -v[72:73]
	v_add_f64 v[166:167], v[54:55], v[74:75]
	v_add_f64 v[181:182], v[58:59], -v[70:71]
	s_mov_b32 s48, 0x4363dd80
	s_mov_b32 s49, 0x3fe0d888
	;; [unrolled: 1-line block ×4, first 2 shown]
	v_add_f64 v[162:163], v[56:57], v[68:69]
	s_mov_b32 s34, 0x910ea3b9
	s_mov_b32 s35, 0xbfeb34fa
	v_add_f64 v[231:232], v[56:57], -v[68:69]
	v_add_f64 v[175:176], v[58:59], v[70:71]
	v_add_f64 v[122:123], v[62:63], -v[66:67]
	s_mov_b32 s42, 0xacd6c6b4
	s_mov_b32 s43, 0xbfc7851a
	v_add_f64 v[114:115], v[60:61], v[64:65]
	s_mov_b32 s36, 0x7faef3
	s_mov_b32 s37, 0xbfef7484
	v_add_f64 v[128:129], v[60:61], -v[64:65]
	v_add_f64 v[130:131], v[62:63], v[66:67]
	v_mul_f64 v[140:141], v[116:117], s[24:25]
	v_mul_f64 v[144:145], v[124:125], s[24:25]
	s_mov_b32 s27, 0x3feec746
	s_mov_b32 s26, s18
	;; [unrolled: 1-line block ×6, first 2 shown]
	v_mul_f64 v[199:200], v[116:117], s[28:29]
	v_mul_f64 v[249:250], v[76:77], s[40:41]
	;; [unrolled: 1-line block ×3, first 2 shown]
	s_mov_b32 s57, 0x3fc7851a
	s_mov_b32 s56, s42
	v_mul_f64 v[120:121], v[146:147], s[26:27]
	v_mul_f64 v[251:252], v[82:83], s[56:57]
	s_mov_b32 s51, 0x3fe58eea
	s_mov_b32 s50, s24
	v_mul_f64 v[239:240], v[116:117], s[4:5]
	v_mul_f64 v[132:133], v[207:208], s[50:51]
	;; [unrolled: 1-line block ×11, first 2 shown]
	s_mov_b32 s55, 0x3fe9895b
	s_mov_b32 s54, s40
	v_mul_f64 v[243:244], v[116:117], s[18:19]
	v_mul_f64 v[183:184], v[76:77], s[48:49]
	;; [unrolled: 1-line block ×10, first 2 shown]
	s_mov_b32 s39, 0x3fefdd0d
	s_mov_b32 s38, s4
	v_mul_f64 v[253:254], v[181:182], s[10:11]
	v_mul_f64 v[138:139], v[173:174], s[38:39]
	;; [unrolled: 1-line block ×18, first 2 shown]
	v_fma_f64 v[108:109], v[118:119], s[16:17], -v[213:214]
	v_fma_f64 v[0:1], v[112:113], s[8:9], v[0:1]
	v_fma_f64 v[2:3], v[142:143], s[8:9], -v[2:3]
	v_fma_f64 v[4:5], v[78:79], s[20:21], v[4:5]
	;; [unrolled: 2-line block ×3, first 2 shown]
	v_add_f64 v[0:1], v[12:13], v[0:1]
	v_add_f64 v[2:3], v[14:15], v[2:3]
	;; [unrolled: 1-line block ×4, first 2 shown]
	v_fma_f64 v[4:5], v[90:91], s[22:23], -v[86:87]
	v_fma_f64 v[6:7], v[88:89], s[6:7], v[92:93]
	v_mul_f64 v[86:87], v[134:135], s[56:57]
	v_mul_f64 v[92:93], v[231:232], s[10:11]
	v_add_f64 v[0:1], v[80:81], v[0:1]
	v_mul_f64 v[80:81], v[94:95], s[40:41]
	v_add_f64 v[2:3], v[4:5], v[2:3]
	v_fma_f64 v[4:5], v[136:137], s[6:7], -v[96:97]
	v_add_f64 v[0:1], v[6:7], v[0:1]
	v_add_f64 v[2:3], v[4:5], v[2:3]
	v_mul_f64 v[4:5], v[152:153], s[18:19]
	buffer_store_dword v4, off, s[60:63], 0 offset:180 ; 4-byte Folded Spill
	buffer_store_dword v5, off, s[60:63], 0 offset:184 ; 4-byte Folded Spill
	v_fma_f64 v[4:5], v[148:149], s[16:17], v[4:5]
	v_add_f64 v[0:1], v[4:5], v[0:1]
	v_mul_f64 v[4:5], v[207:208], s[18:19]
	buffer_store_dword v4, off, s[60:63], 0 offset:212 ; 4-byte Folded Spill
	buffer_store_dword v5, off, s[60:63], 0 offset:216 ; 4-byte Folded Spill
	v_fma_f64 v[4:5], v[158:159], s[16:17], -v[4:5]
	v_add_f64 v[2:3], v[4:5], v[2:3]
	v_mul_f64 v[4:5], v[173:174], s[40:41]
	buffer_store_dword v4, off, s[60:63], 0 offset:196 ; 4-byte Folded Spill
	buffer_store_dword v5, off, s[60:63], 0 offset:200 ; 4-byte Folded Spill
	v_fma_f64 v[4:5], v[154:155], s[30:31], v[4:5]
	v_add_f64 v[0:1], v[4:5], v[0:1]
	v_mul_f64 v[4:5], v[215:216], s[40:41]
	buffer_store_dword v4, off, s[60:63], 0 offset:244 ; 4-byte Folded Spill
	buffer_store_dword v5, off, s[60:63], 0 offset:248 ; 4-byte Folded Spill
	v_fma_f64 v[4:5], v[166:167], s[30:31], -v[4:5]
	;; [unrolled: 10-line block ×4, first 2 shown]
	v_add_f64 v[6:7], v[0:1], v[2:3]
	v_mul_f64 v[2:3], v[76:77], s[4:5]
	v_fma_f64 v[0:1], v[112:113], s[20:21], v[140:141]
	buffer_store_dword v4, off, s[60:63], 0 offset:20 ; 4-byte Folded Spill
	buffer_store_dword v5, off, s[60:63], 0 offset:24 ; 4-byte Folded Spill
	;; [unrolled: 1-line block ×6, first 2 shown]
	v_mul_f64 v[4:5], v[94:95], s[4:5]
	v_add_f64 v[0:1], v[12:13], v[0:1]
	buffer_store_dword v4, off, s[60:63], 0 offset:516 ; 4-byte Folded Spill
	buffer_store_dword v5, off, s[60:63], 0 offset:520 ; 4-byte Folded Spill
	v_fma_f64 v[2:3], v[78:79], s[6:7], v[2:3]
	v_add_f64 v[0:1], v[2:3], v[0:1]
	v_fma_f64 v[2:3], v[142:143], s[20:21], -v[144:145]
	v_fma_f64 v[4:5], v[118:119], s[6:7], -v[4:5]
	v_add_f64 v[2:3], v[14:15], v[2:3]
	v_add_f64 v[2:3], v[4:5], v[2:3]
	v_mul_f64 v[4:5], v[82:83], s[40:41]
	buffer_store_dword v4, off, s[60:63], 0 offset:412 ; 4-byte Folded Spill
	buffer_store_dword v5, off, s[60:63], 0 offset:416 ; 4-byte Folded Spill
	v_fma_f64 v[4:5], v[84:85], s[30:31], v[4:5]
	v_add_f64 v[0:1], v[4:5], v[0:1]
	v_mul_f64 v[4:5], v[134:135], s[40:41]
	buffer_store_dword v4, off, s[60:63], 0 offset:436 ; 4-byte Folded Spill
	buffer_store_dword v5, off, s[60:63], 0 offset:440 ; 4-byte Folded Spill
	v_fma_f64 v[4:5], v[90:91], s[30:31], -v[4:5]
	v_add_f64 v[2:3], v[4:5], v[2:3]
	v_mul_f64 v[4:5], v[126:127], s[42:43]
	buffer_store_dword v4, off, s[60:63], 0 offset:388 ; 4-byte Folded Spill
	buffer_store_dword v5, off, s[60:63], 0 offset:392 ; 4-byte Folded Spill
	v_fma_f64 v[4:5], v[88:89], s[36:37], v[4:5]
	v_add_f64 v[0:1], v[4:5], v[0:1]
	v_mul_f64 v[4:5], v[146:147], s[42:43]
	buffer_store_dword v4, off, s[60:63], 0 offset:396 ; 4-byte Folded Spill
	buffer_store_dword v5, off, s[60:63], 0 offset:400 ; 4-byte Folded Spill
	v_fma_f64 v[4:5], v[136:137], s[36:37], -v[4:5]
	;; [unrolled: 10-line block ×6, first 2 shown]
	v_add_f64 v[6:7], v[0:1], v[2:3]
	v_fma_f64 v[0:1], v[112:113], s[22:23], v[199:200]
	v_fma_f64 v[2:3], v[78:79], s[30:31], v[249:250]
	buffer_store_dword v4, off, s[60:63], 0 offset:36 ; 4-byte Folded Spill
	buffer_store_dword v5, off, s[60:63], 0 offset:40 ; 4-byte Folded Spill
	buffer_store_dword v6, off, s[60:63], 0 offset:44 ; 4-byte Folded Spill
	buffer_store_dword v7, off, s[60:63], 0 offset:48 ; 4-byte Folded Spill
	v_add_f64 v[0:1], v[12:13], v[0:1]
	v_fma_f64 v[4:5], v[118:119], s[30:31], -v[80:81]
	v_add_f64 v[0:1], v[2:3], v[0:1]
	v_fma_f64 v[2:3], v[142:143], s[22:23], -v[203:204]
	v_add_f64 v[2:3], v[14:15], v[2:3]
	v_add_f64 v[2:3], v[4:5], v[2:3]
	v_fma_f64 v[4:5], v[84:85], s[36:37], v[251:252]
	v_add_f64 v[0:1], v[4:5], v[0:1]
	v_fma_f64 v[4:5], v[90:91], s[36:37], -v[86:87]
	v_add_f64 v[2:3], v[4:5], v[2:3]
	v_mul_f64 v[4:5], v[126:127], s[26:27]
	buffer_store_dword v4, off, s[60:63], 0 offset:532 ; 4-byte Folded Spill
	buffer_store_dword v5, off, s[60:63], 0 offset:536 ; 4-byte Folded Spill
	v_fma_f64 v[4:5], v[88:89], s[16:17], v[4:5]
	v_add_f64 v[0:1], v[4:5], v[0:1]
	v_fma_f64 v[4:5], v[136:137], s[16:17], -v[120:121]
	v_add_f64 v[2:3], v[4:5], v[2:3]
	v_mul_f64 v[4:5], v[152:153], s[50:51]
	buffer_store_dword v4, off, s[60:63], 0 offset:524 ; 4-byte Folded Spill
	buffer_store_dword v5, off, s[60:63], 0 offset:528 ; 4-byte Folded Spill
	;; [unrolled: 7-line block ×3, first 2 shown]
	v_fma_f64 v[4:5], v[154:155], s[8:9], v[4:5]
	v_add_f64 v[0:1], v[4:5], v[0:1]
	v_mul_f64 v[4:5], v[215:216], s[10:11]
	buffer_store_dword v4, off, s[60:63], 0 offset:492 ; 4-byte Folded Spill
	buffer_store_dword v5, off, s[60:63], 0 offset:496 ; 4-byte Folded Spill
	v_fma_f64 v[4:5], v[166:167], s[8:9], -v[4:5]
	v_add_f64 v[2:3], v[4:5], v[2:3]
	v_mul_f64 v[4:5], v[181:182], s[4:5]
	buffer_store_dword v4, off, s[60:63], 0 offset:468 ; 4-byte Folded Spill
	buffer_store_dword v5, off, s[60:63], 0 offset:472 ; 4-byte Folded Spill
	v_fma_f64 v[4:5], v[162:163], s[6:7], v[4:5]
	v_add_f64 v[0:1], v[4:5], v[0:1]
	v_mul_f64 v[4:5], v[231:232], s[4:5]
	buffer_store_dword v4, off, s[60:63], 0 offset:476 ; 4-byte Folded Spill
	buffer_store_dword v5, off, s[60:63], 0 offset:480 ; 4-byte Folded Spill
	v_fma_f64 v[4:5], v[175:176], s[6:7], -v[4:5]
	v_add_f64 v[2:3], v[4:5], v[2:3]
	v_mul_f64 v[4:5], v[122:123], s[44:45]
	buffer_store_dword v4, off, s[60:63], 0 offset:452 ; 4-byte Folded Spill
	buffer_store_dword v5, off, s[60:63], 0 offset:456 ; 4-byte Folded Spill
	v_fma_f64 v[4:5], v[114:115], s[34:35], v[4:5]
	v_add_f64 v[96:97], v[4:5], v[0:1]
	v_mul_f64 v[0:1], v[128:129], s[44:45]
	buffer_store_dword v0, off, s[60:63], 0 offset:508 ; 4-byte Folded Spill
	buffer_store_dword v1, off, s[60:63], 0 offset:512 ; 4-byte Folded Spill
	v_fma_f64 v[4:5], v[118:119], s[36:37], -v[164:165]
	v_fma_f64 v[0:1], v[130:131], s[34:35], -v[0:1]
	v_add_f64 v[98:99], v[0:1], v[2:3]
	v_fma_f64 v[0:1], v[112:113], s[6:7], v[239:240]
	v_fma_f64 v[2:3], v[78:79], s[36:37], v[150:151]
	v_add_f64 v[0:1], v[12:13], v[0:1]
	v_add_f64 v[0:1], v[2:3], v[0:1]
	v_fma_f64 v[2:3], v[142:143], s[6:7], -v[241:242]
	v_add_f64 v[2:3], v[14:15], v[2:3]
	v_add_f64 v[2:3], v[4:5], v[2:3]
	v_fma_f64 v[4:5], v[84:85], s[16:17], v[156:157]
	v_add_f64 v[0:1], v[4:5], v[0:1]
	v_fma_f64 v[4:5], v[90:91], s[16:17], -v[168:169]
	v_add_f64 v[2:3], v[4:5], v[2:3]
	v_fma_f64 v[4:5], v[88:89], s[8:9], v[160:161]
	v_add_f64 v[0:1], v[4:5], v[0:1]
	v_fma_f64 v[4:5], v[136:137], s[8:9], -v[177:178]
	;; [unrolled: 4-line block ×3, first 2 shown]
	v_add_f64 v[2:3], v[4:5], v[2:3]
	v_mul_f64 v[4:5], v[173:174], s[44:45]
	buffer_store_dword v4, off, s[60:63], 0 offset:588 ; 4-byte Folded Spill
	buffer_store_dword v5, off, s[60:63], 0 offset:592 ; 4-byte Folded Spill
	v_fma_f64 v[4:5], v[154:155], s[34:35], v[4:5]
	v_add_f64 v[0:1], v[4:5], v[0:1]
	v_mul_f64 v[4:5], v[215:216], s[44:45]
	buffer_store_dword v4, off, s[60:63], 0 offset:596 ; 4-byte Folded Spill
	buffer_store_dword v5, off, s[60:63], 0 offset:600 ; 4-byte Folded Spill
	v_fma_f64 v[4:5], v[166:167], s[34:35], -v[4:5]
	v_add_f64 v[2:3], v[4:5], v[2:3]
	v_mul_f64 v[4:5], v[181:182], s[54:55]
	buffer_store_dword v4, off, s[60:63], 0 offset:572 ; 4-byte Folded Spill
	buffer_store_dword v5, off, s[60:63], 0 offset:576 ; 4-byte Folded Spill
	v_fma_f64 v[4:5], v[162:163], s[30:31], v[4:5]
	v_add_f64 v[0:1], v[4:5], v[0:1]
	v_mul_f64 v[4:5], v[231:232], s[54:55]
	buffer_store_dword v4, off, s[60:63], 0 offset:580 ; 4-byte Folded Spill
	buffer_store_dword v5, off, s[60:63], 0 offset:584 ; 4-byte Folded Spill
	v_fma_f64 v[4:5], v[175:176], s[30:31], -v[4:5]
	;; [unrolled: 10-line block ×3, first 2 shown]
	v_fma_f64 v[0:1], v[130:131], s[20:21], -v[0:1]
	v_add_f64 v[102:103], v[0:1], v[2:3]
	v_fma_f64 v[0:1], v[112:113], s[16:17], v[243:244]
	v_fma_f64 v[2:3], v[78:79], s[34:35], v[183:184]
	v_add_f64 v[0:1], v[12:13], v[0:1]
	v_add_f64 v[0:1], v[2:3], v[0:1]
	v_fma_f64 v[2:3], v[142:143], s[16:17], -v[245:246]
	v_add_f64 v[2:3], v[14:15], v[2:3]
	v_add_f64 v[2:3], v[4:5], v[2:3]
	v_fma_f64 v[4:5], v[84:85], s[20:21], v[185:186]
	v_add_f64 v[0:1], v[4:5], v[0:1]
	v_fma_f64 v[4:5], v[90:91], s[20:21], -v[193:194]
	v_add_f64 v[2:3], v[4:5], v[2:3]
	v_fma_f64 v[4:5], v[88:89], s[22:23], v[187:188]
	v_add_f64 v[0:1], v[4:5], v[0:1]
	v_fma_f64 v[4:5], v[136:137], s[22:23], -v[195:196]
	;; [unrolled: 4-line block ×5, first 2 shown]
	v_add_f64 v[2:3], v[4:5], v[2:3]
	v_mul_f64 v[4:5], v[122:123], s[40:41]
	buffer_store_dword v4, off, s[60:63], 0 offset:604 ; 4-byte Folded Spill
	buffer_store_dword v5, off, s[60:63], 0 offset:608 ; 4-byte Folded Spill
	s_waitcnt_vscnt null, 0x0
	s_barrier
	buffer_gl0_inv
	v_fma_f64 v[4:5], v[114:115], s[30:31], v[4:5]
	v_add_f64 v[104:105], v[4:5], v[0:1]
	v_fma_f64 v[0:1], v[130:131], s[30:31], -v[247:248]
	v_fma_f64 v[4:5], v[78:79], s[16:17], v[205:206]
	v_add_f64 v[106:107], v[0:1], v[2:3]
	v_mul_f64 v[0:1], v[116:117], s[40:41]
	v_fma_f64 v[2:3], v[112:113], s[30:31], v[0:1]
	v_add_f64 v[2:3], v[12:13], v[2:3]
	v_add_f64 v[4:5], v[4:5], v[2:3]
	v_mul_f64 v[2:3], v[124:125], s[40:41]
	v_fma_f64 v[6:7], v[142:143], s[30:31], -v[2:3]
	v_add_f64 v[6:7], v[14:15], v[6:7]
	v_add_f64 v[6:7], v[108:109], v[6:7]
	v_fma_f64 v[108:109], v[84:85], s[8:9], v[209:210]
	v_add_f64 v[4:5], v[108:109], v[4:5]
	v_fma_f64 v[108:109], v[90:91], s[8:9], -v[219:220]
	v_add_f64 v[6:7], v[108:109], v[6:7]
	v_fma_f64 v[108:109], v[88:89], s[34:35], v[211:212]
	v_add_f64 v[4:5], v[108:109], v[4:5]
	v_fma_f64 v[108:109], v[136:137], s[34:35], -v[223:224]
	;; [unrolled: 4-line block ×6, first 2 shown]
	v_add_f64 v[110:111], v[4:5], v[6:7]
	s_and_saveexec_b32 s33, vcc_lo
	s_cbranch_execz .LBB0_7
; %bb.6:
	v_add_f64 v[6:7], v[12:13], v[28:29]
	v_add_f64 v[4:5], v[14:15], v[30:31]
	v_mul_f64 v[28:29], v[142:143], s[30:31]
	v_mul_f64 v[30:31], v[112:113], s[16:17]
	v_add_f64 v[6:7], v[6:7], v[36:37]
	v_add_f64 v[4:5], v[4:5], v[38:39]
	;; [unrolled: 1-line block ×3, first 2 shown]
	v_mul_f64 v[28:29], v[112:113], s[30:31]
	v_mul_f64 v[36:37], v[142:143], s[22:23]
	;; [unrolled: 1-line block ×3, first 2 shown]
	v_add_f64 v[30:31], v[30:31], -v[243:244]
	v_add_f64 v[6:7], v[6:7], v[40:41]
	v_add_f64 v[4:5], v[4:5], v[42:43]
	v_mul_f64 v[40:41], v[142:143], s[20:21]
	v_add_f64 v[0:1], v[28:29], -v[0:1]
	v_mul_f64 v[28:29], v[142:143], s[16:17]
	v_add_f64 v[36:37], v[203:204], v[36:37]
	v_mul_f64 v[42:43], v[112:113], s[20:21]
	v_add_f64 v[38:39], v[38:39], -v[199:200]
	v_add_f64 v[30:31], v[12:13], v[30:31]
	v_add_f64 v[6:7], v[6:7], v[44:45]
	;; [unrolled: 1-line block ×3, first 2 shown]
	s_clause 0x1
	buffer_load_dword v46, off, s[60:63], 0 offset:164
	buffer_load_dword v47, off, s[60:63], 0 offset:168
	v_mul_f64 v[44:45], v[142:143], s[8:9]
	v_add_f64 v[28:29], v[245:246], v[28:29]
	v_add_f64 v[40:41], v[144:145], v[40:41]
	;; [unrolled: 1-line block ×3, first 2 shown]
	v_add_f64 v[42:43], v[42:43], -v[140:141]
	v_add_f64 v[38:39], v[12:13], v[38:39]
	v_add_f64 v[6:7], v[6:7], v[48:49]
	;; [unrolled: 1-line block ×3, first 2 shown]
	v_mul_f64 v[48:49], v[116:117], s[44:45]
	v_add_f64 v[28:29], v[14:15], v[28:29]
	v_add_f64 v[40:41], v[14:15], v[40:41]
	;; [unrolled: 1-line block ×5, first 2 shown]
	v_mul_f64 v[54:55], v[112:113], s[8:9]
	v_fma_f64 v[52:53], v[112:113], s[34:35], v[48:49]
	v_fma_f64 v[48:49], v[112:113], s[34:35], -v[48:49]
	v_add_f64 v[6:7], v[6:7], v[56:57]
	s_clause 0x1
	buffer_load_dword v56, off, s[60:63], 0 offset:148
	buffer_load_dword v57, off, s[60:63], 0 offset:152
	v_add_f64 v[4:5], v[4:5], v[58:59]
	v_add_f64 v[58:59], v[12:13], v[0:1]
	;; [unrolled: 1-line block ×13, first 2 shown]
	v_mul_f64 v[32:33], v[142:143], s[6:7]
	v_add_f64 v[4:5], v[4:5], v[34:35]
	v_mul_f64 v[34:35], v[112:113], s[6:7]
	v_add_f64 v[6:7], v[6:7], v[24:25]
	;; [unrolled: 2-line block ×3, first 2 shown]
	v_add_f64 v[32:33], v[241:242], v[32:33]
	v_add_f64 v[34:35], v[34:35], -v[239:240]
	v_add_f64 v[6:7], v[6:7], v[20:21]
	v_mul_f64 v[20:21], v[142:143], s[36:37]
	v_add_f64 v[4:5], v[4:5], v[22:23]
	v_fma_f64 v[26:27], v[124:125], s[48:49], v[24:25]
	v_fma_f64 v[24:25], v[124:125], s[44:45], v[24:25]
	v_add_f64 v[32:33], v[14:15], v[32:33]
	v_add_f64 v[34:35], v[12:13], v[34:35]
	v_fma_f64 v[22:23], v[124:125], s[56:57], v[20:21]
	v_fma_f64 v[20:21], v[124:125], s[42:43], v[20:21]
	v_add_f64 v[26:27], v[14:15], v[26:27]
	v_add_f64 v[24:25], v[14:15], v[24:25]
	;; [unrolled: 1-line block ×3, first 2 shown]
	v_mul_f64 v[4:5], v[175:176], s[16:17]
	v_add_f64 v[22:23], v[14:15], v[22:23]
	v_add_f64 v[20:21], v[14:15], v[20:21]
	;; [unrolled: 1-line block ×3, first 2 shown]
	v_fma_f64 v[60:61], v[231:232], s[18:19], v[4:5]
	s_waitcnt vmcnt(2)
	v_add_f64 v[44:45], v[46:47], v[44:45]
	v_mul_f64 v[46:47], v[116:117], s[42:43]
	v_add_f64 v[44:45], v[14:15], v[44:45]
	v_fma_f64 v[50:51], v[112:113], s[36:37], v[46:47]
	v_fma_f64 v[46:47], v[112:113], s[36:37], -v[46:47]
	v_add_f64 v[50:51], v[12:13], v[50:51]
	v_add_f64 v[46:47], v[12:13], v[46:47]
	s_waitcnt vmcnt(0)
	v_add_f64 v[54:55], v[54:55], -v[56:57]
	v_add_f64 v[56:57], v[14:15], v[2:3]
	v_mul_f64 v[14:15], v[162:163], s[36:37]
	v_add_f64 v[2:3], v[6:7], v[16:17]
	v_mul_f64 v[6:7], v[175:176], s[20:21]
	v_fma_f64 v[16:17], v[231:232], s[26:27], v[4:5]
	v_add_f64 v[54:55], v[12:13], v[54:55]
	v_mul_f64 v[12:13], v[175:176], s[36:37]
	v_add_f64 v[14:15], v[14:15], -v[225:226]
	v_mul_f64 v[225:226], v[154:155], s[20:21]
	v_fma_f64 v[4:5], v[231:232], s[24:25], v[6:7]
	v_fma_f64 v[62:63], v[231:232], s[50:51], v[6:7]
	v_mul_f64 v[6:7], v[166:167], s[22:23]
	v_add_f64 v[8:9], v[2:3], v[8:9]
	v_add_f64 v[231:232], v[235:236], v[12:13]
	s_clause 0x1
	buffer_load_dword v235, off, s[60:63], 0 offset:516
	buffer_load_dword v236, off, s[60:63], 0 offset:520
	v_add_f64 v[221:222], v[225:226], -v[221:222]
	v_mul_f64 v[225:226], v[148:149], s[6:7]
	v_mul_f64 v[12:13], v[166:167], s[20:21]
	v_fma_f64 v[18:19], v[215:216], s[28:29], v[6:7]
	v_fma_f64 v[64:65], v[215:216], s[46:47], v[6:7]
	v_mul_f64 v[6:7], v[166:167], s[36:37]
	v_add_f64 v[217:218], v[225:226], -v[217:218]
	v_mul_f64 v[225:226], v[88:89], s[34:35]
	v_add_f64 v[233:234], v[233:234], v[12:13]
	v_mul_f64 v[12:13], v[158:159], s[6:7]
	v_fma_f64 v[66:67], v[215:216], s[56:57], v[6:7]
	v_fma_f64 v[68:69], v[215:216], s[42:43], v[6:7]
	v_mul_f64 v[6:7], v[158:159], s[30:31]
	v_add_f64 v[211:212], v[225:226], -v[211:212]
	v_mul_f64 v[225:226], v[84:85], s[8:9]
	v_add_f64 v[227:228], v[227:228], v[12:13]
	;; [unrolled: 7-line block ×4, first 2 shown]
	v_mul_f64 v[12:13], v[118:119], s[16:17]
	v_fma_f64 v[116:117], v[146:147], s[24:25], v[6:7]
	v_fma_f64 v[124:125], v[146:147], s[50:51], v[6:7]
	v_mul_f64 v[6:7], v[136:137], s[30:31]
	v_add_f64 v[58:59], v[205:206], v[58:59]
	v_add_f64 v[201:202], v[201:202], v[225:226]
	v_mul_f64 v[225:226], v[90:91], s[20:21]
	v_add_f64 v[213:214], v[213:214], v[12:13]
	v_mul_f64 v[12:13], v[114:115], s[22:23]
	v_fma_f64 v[140:141], v[146:147], s[40:41], v[6:7]
	v_fma_f64 v[142:143], v[146:147], s[54:55], v[6:7]
	v_mul_f64 v[6:7], v[90:91], s[34:35]
	v_add_f64 v[58:59], v[209:210], v[58:59]
	v_add_f64 v[193:194], v[193:194], v[225:226]
	v_mul_f64 v[225:226], v[118:119], s[34:35]
	v_add_f64 v[56:57], v[213:214], v[56:57]
	v_add_f64 v[12:13], v[12:13], -v[229:230]
	v_mul_f64 v[229:230], v[136:137], s[16:17]
	v_fma_f64 v[144:145], v[134:135], s[48:49], v[6:7]
	v_fma_f64 v[146:147], v[134:135], s[44:45], v[6:7]
	v_mul_f64 v[6:7], v[90:91], s[6:7]
	v_add_f64 v[58:59], v[211:212], v[58:59]
	v_add_f64 v[189:190], v[189:190], v[225:226]
	v_mul_f64 v[225:226], v[136:137], s[22:23]
	v_add_f64 v[56:57], v[219:220], v[56:57]
	v_add_f64 v[120:121], v[120:121], v[229:230]
	v_mul_f64 v[229:230], v[118:119], s[6:7]
	v_fma_f64 v[199:200], v[134:135], s[38:39], v[6:7]
	v_fma_f64 v[134:135], v[134:135], s[4:5], v[6:7]
	v_mul_f64 v[6:7], v[118:119], s[8:9]
	v_add_f64 v[28:29], v[189:190], v[28:29]
	v_add_f64 v[195:196], v[195:196], v[225:226]
	v_mul_f64 v[225:226], v[158:159], s[36:37]
	v_add_f64 v[56:57], v[223:224], v[56:57]
	v_fma_f64 v[203:204], v[94:95], s[10:11], v[6:7]
	v_fma_f64 v[207:208], v[94:95], s[52:53], v[6:7]
	v_mul_f64 v[6:7], v[118:119], s[22:23]
	v_add_f64 v[28:29], v[193:194], v[28:29]
	v_add_f64 v[197:198], v[197:198], v[225:226]
	v_mul_f64 v[225:226], v[78:79], s[34:35]
	v_add_f64 v[22:23], v[203:204], v[22:23]
	v_mul_f64 v[203:204], v[76:77], s[52:53]
	v_mul_f64 v[76:77], v[76:77], s[46:47]
	v_fma_f64 v[215:216], v[94:95], s[28:29], v[6:7]
	v_fma_f64 v[94:95], v[94:95], s[46:47], v[6:7]
	v_mul_f64 v[6:7], v[130:131], s[22:23]
	v_add_f64 v[20:21], v[207:208], v[20:21]
	v_add_f64 v[183:184], v[225:226], -v[183:184]
	v_mul_f64 v[225:226], v[84:85], s[20:21]
	v_add_f64 v[22:23], v[144:145], v[22:23]
	v_fma_f64 v[239:240], v[78:79], s[8:9], v[203:204]
	v_fma_f64 v[203:204], v[78:79], s[8:9], -v[203:204]
	v_add_f64 v[26:27], v[215:216], v[26:27]
	v_add_f64 v[24:25], v[94:95], v[24:25]
	;; [unrolled: 1-line block ×3, first 2 shown]
	s_clause 0x1
	buffer_load_dword v237, off, s[60:63], 0 offset:500
	buffer_load_dword v238, off, s[60:63], 0 offset:504
	v_add_f64 v[20:21], v[146:147], v[20:21]
	v_add_f64 v[30:31], v[183:184], v[30:31]
	v_add_f64 v[185:186], v[225:226], -v[185:186]
	v_mul_f64 v[225:226], v[88:89], s[22:23]
	v_add_f64 v[22:23], v[116:117], v[22:23]
	v_add_f64 v[50:51], v[239:240], v[50:51]
	;; [unrolled: 1-line block ×3, first 2 shown]
	v_fma_f64 v[203:204], v[78:79], s[22:23], v[76:77]
	v_fma_f64 v[76:77], v[78:79], s[22:23], -v[76:77]
	v_add_f64 v[26:27], v[199:200], v[26:27]
	v_add_f64 v[24:25], v[134:135], v[24:25]
	;; [unrolled: 1-line block ×4, first 2 shown]
	v_add_f64 v[187:188], v[225:226], -v[187:188]
	v_mul_f64 v[225:226], v[148:149], s[36:37]
	v_add_f64 v[22:23], v[70:71], v[22:23]
	v_mul_f64 v[70:71], v[154:155], s[34:35]
	v_add_f64 v[52:53], v[203:204], v[52:53]
	v_add_f64 v[48:49], v[76:77], v[48:49]
	v_mul_f64 v[76:77], v[82:83], s[44:45]
	v_add_f64 v[26:27], v[140:141], v[26:27]
	v_add_f64 v[20:21], v[72:73], v[20:21]
	v_add_f64 v[24:25], v[142:143], v[24:25]
	v_add_f64 v[191:192], v[225:226], -v[191:192]
	v_mul_f64 v[225:226], v[118:119], s[36:37]
	v_add_f64 v[22:23], v[18:19], v[22:23]
	v_mul_f64 v[18:19], v[173:174], s[46:47]
	v_add_f64 v[26:27], v[74:75], v[26:27]
	v_add_f64 v[24:25], v[112:113], v[24:25]
	s_waitcnt vmcnt(2)
	v_add_f64 v[229:230], v[235:236], v[229:230]
	v_mul_f64 v[235:236], v[78:79], s[6:7]
	v_add_f64 v[164:165], v[164:165], v[225:226]
	v_mul_f64 v[225:226], v[90:91], s[16:17]
	v_add_f64 v[40:41], v[229:230], v[40:41]
	v_add_f64 v[32:33], v[164:165], v[32:33]
	v_add_f64 v[168:169], v[168:169], v[225:226]
	v_mul_f64 v[225:226], v[136:137], s[8:9]
	v_add_f64 v[32:33], v[168:169], v[32:33]
	v_add_f64 v[177:178], v[177:178], v[225:226]
	v_mul_f64 v[225:226], v[158:159], s[22:23]
	v_add_f64 v[179:180], v[179:180], v[225:226]
	v_mul_f64 v[225:226], v[148:149], s[22:23]
	v_add_f64 v[170:171], v[225:226], -v[170:171]
	v_mul_f64 v[225:226], v[78:79], s[36:37]
	v_add_f64 v[150:151], v[225:226], -v[150:151]
	v_mul_f64 v[225:226], v[84:85], s[16:17]
	v_add_f64 v[34:35], v[150:151], v[34:35]
	v_add_f64 v[156:157], v[225:226], -v[156:157]
	v_mul_f64 v[225:226], v[88:89], s[8:9]
	v_add_f64 v[34:35], v[156:157], v[34:35]
	v_add_f64 v[160:161], v[225:226], -v[160:161]
	v_mul_f64 v[225:226], v[118:119], s[30:31]
	v_mul_f64 v[118:119], v[118:119], s[20:21]
	v_add_f64 v[34:35], v[160:161], v[34:35]
	v_add_f64 v[80:81], v[80:81], v[225:226]
	v_mul_f64 v[225:226], v[158:159], s[20:21]
	v_add_f64 v[34:35], v[170:171], v[34:35]
	v_add_f64 v[36:37], v[80:81], v[36:37]
	v_fma_f64 v[80:81], v[84:85], s[34:35], v[76:77]
	v_fma_f64 v[76:77], v[84:85], s[34:35], -v[76:77]
	v_add_f64 v[132:133], v[132:133], v[225:226]
	v_mul_f64 v[225:226], v[90:91], s[36:37]
	v_add_f64 v[50:51], v[80:81], v[50:51]
	v_add_f64 v[46:47], v[76:77], v[46:47]
	v_mul_f64 v[76:77], v[82:83], s[4:5]
	v_add_f64 v[82:83], v[177:178], v[32:33]
	v_mul_f64 v[32:33], v[152:153], s[10:11]
	;; [unrolled: 2-line block ×3, first 2 shown]
	s_waitcnt vmcnt(0)
	v_add_f64 v[235:236], v[235:236], -v[237:238]
	s_clause 0x1
	buffer_load_dword v237, off, s[60:63], 0 offset:100
	buffer_load_dword v238, off, s[60:63], 0 offset:104
	v_fma_f64 v[80:81], v[84:85], s[6:7], v[76:77]
	v_fma_f64 v[76:77], v[84:85], s[6:7], -v[76:77]
	v_add_f64 v[36:37], v[86:87], v[36:37]
	v_add_f64 v[225:226], v[225:226], -v[249:250]
	v_add_f64 v[42:43], v[235:236], v[42:43]
	v_add_f64 v[52:53], v[80:81], v[52:53]
	;; [unrolled: 1-line block ×3, first 2 shown]
	v_mul_f64 v[76:77], v[126:127], s[50:51]
	v_add_f64 v[36:37], v[120:121], v[36:37]
	v_add_f64 v[38:39], v[225:226], v[38:39]
	v_fma_f64 v[80:81], v[88:89], s[20:21], v[76:77]
	v_fma_f64 v[76:77], v[88:89], s[20:21], -v[76:77]
	v_add_f64 v[36:37], v[132:133], v[36:37]
	v_add_f64 v[50:51], v[80:81], v[50:51]
	;; [unrolled: 1-line block ×3, first 2 shown]
	v_mul_f64 v[76:77], v[126:127], s[54:55]
	v_fma_f64 v[80:81], v[88:89], s[30:31], v[76:77]
	v_fma_f64 v[76:77], v[88:89], s[30:31], -v[76:77]
	v_add_f64 v[52:53], v[80:81], v[52:53]
	v_add_f64 v[48:49], v[76:77], v[48:49]
	;; [unrolled: 1-line block ×3, first 2 shown]
	v_mul_f64 v[28:29], v[152:153], s[40:41]
	v_add_f64 v[80:81], v[187:188], v[30:31]
	v_fma_f64 v[30:31], v[148:149], s[30:31], v[28:29]
	v_fma_f64 v[28:29], v[148:149], s[30:31], -v[28:29]
	v_add_f64 v[30:31], v[30:31], v[50:51]
	v_add_f64 v[28:29], v[28:29], v[46:47]
	v_fma_f64 v[46:47], v[148:149], s[8:9], v[32:33]
	v_fma_f64 v[32:33], v[148:149], s[8:9], -v[32:33]
	v_add_f64 v[50:51], v[217:218], v[58:59]
	;; [unrolled: 4-line block ×3, first 2 shown]
	v_add_f64 v[48:49], v[227:228], v[56:57]
	v_add_f64 v[30:31], v[52:53], v[30:31]
	;; [unrolled: 1-line block ×4, first 2 shown]
	v_mul_f64 v[26:27], v[173:174], s[42:43]
	v_add_f64 v[28:29], v[18:19], v[28:29]
	v_add_f64 v[48:49], v[233:234], v[48:49]
	v_mul_f64 v[66:67], v[166:167], s[34:35]
	v_add_f64 v[112:113], v[4:5], v[20:21]
	v_fma_f64 v[18:19], v[154:155], s[36:37], v[26:27]
	v_add_f64 v[18:19], v[18:19], v[46:47]
	v_add_f64 v[46:47], v[68:69], v[24:25]
	v_fma_f64 v[24:25], v[154:155], s[36:37], -v[26:27]
	v_add_f64 v[26:27], v[62:63], v[46:47]
	v_add_f64 v[56:57], v[24:25], v[32:33]
	;; [unrolled: 1-line block ×4, first 2 shown]
	v_mul_f64 v[16:17], v[181:182], s[18:19]
	v_mul_f64 v[46:47], v[181:182], s[50:51]
	v_add_f64 v[24:25], v[60:61], v[52:53]
	s_clause 0x1
	buffer_load_dword v52, off, s[60:63], 0 offset:52
	buffer_load_dword v53, off, s[60:63], 0 offset:56
	v_fma_f64 v[22:23], v[162:163], s[16:17], v[16:17]
	v_fma_f64 v[16:17], v[162:163], s[16:17], -v[16:17]
	s_waitcnt vmcnt(2)
	v_add_f64 v[118:119], v[237:238], v[118:119]
	v_mul_f64 v[237:238], v[84:85], s[36:37]
	v_add_f64 v[22:23], v[22:23], v[30:31]
	v_add_f64 v[16:17], v[16:17], v[28:29]
	v_fma_f64 v[28:29], v[162:163], s[20:21], -v[46:47]
	v_add_f64 v[30:31], v[231:232], v[48:49]
	v_mul_f64 v[48:49], v[78:79], s[20:21]
	v_fma_f64 v[46:47], v[162:163], s[20:21], v[46:47]
	v_add_f64 v[44:45], v[118:119], v[44:45]
	v_add_f64 v[237:238], v[237:238], -v[251:252]
	v_add_f64 v[28:29], v[28:29], v[56:57]
	s_clause 0x9
	buffer_load_dword v56, off, s[60:63], 0 offset:436
	buffer_load_dword v57, off, s[60:63], 0 offset:440
	;; [unrolled: 1-line block ×10, first 2 shown]
	v_add_f64 v[38:39], v[237:238], v[38:39]
	s_waitcnt vmcnt(10)
	v_add_f64 v[48:49], v[48:49], -v[52:53]
	v_mul_f64 v[52:53], v[90:91], s[30:31]
	v_add_f64 v[48:49], v[48:49], v[54:55]
	v_mul_f64 v[54:55], v[136:137], s[36:37]
	s_waitcnt vmcnt(8)
	v_add_f64 v[52:53], v[56:57], v[52:53]
	v_mul_f64 v[56:57], v[84:85], s[30:31]
	v_add_f64 v[40:41], v[52:53], v[40:41]
	s_waitcnt vmcnt(6)
	v_add_f64 v[56:57], v[56:57], -v[58:59]
	v_mul_f64 v[58:59], v[90:91], s[22:23]
	v_mul_f64 v[52:53], v[88:89], s[36:37]
	;; [unrolled: 1-line block ×3, first 2 shown]
	v_add_f64 v[42:43], v[56:57], v[42:43]
	s_waitcnt vmcnt(4)
	v_add_f64 v[58:59], v[60:61], v[58:59]
	v_mul_f64 v[60:61], v[88:89], s[16:17]
	v_mul_f64 v[56:57], v[136:137], s[6:7]
	v_fma_f64 v[94:95], v[128:129], s[18:19], v[90:91]
	v_fma_f64 v[90:91], v[128:129], s[26:27], v[90:91]
	v_add_f64 v[44:45], v[58:59], v[44:45]
	s_waitcnt vmcnt(2)
	v_add_f64 v[60:61], v[60:61], -v[62:63]
	v_mul_f64 v[62:63], v[84:85], s[22:23]
	v_mul_f64 v[58:59], v[88:89], s[6:7]
	v_add_f64 v[20:21], v[94:95], v[26:27]
	v_add_f64 v[38:39], v[60:61], v[38:39]
	s_waitcnt vmcnt(0)
	v_add_f64 v[62:63], v[62:63], -v[64:65]
	s_clause 0x1
	buffer_load_dword v64, off, s[60:63], 0 offset:396
	buffer_load_dword v65, off, s[60:63], 0 offset:400
	v_mul_f64 v[60:61], v[158:159], s[34:35]
	v_add_f64 v[48:49], v[62:63], v[48:49]
	v_mul_f64 v[62:63], v[148:149], s[20:21]
	s_waitcnt vmcnt(0)
	v_add_f64 v[54:55], v[64:65], v[54:55]
	s_clause 0x1
	buffer_load_dword v64, off, s[60:63], 0 offset:388
	buffer_load_dword v65, off, s[60:63], 0 offset:392
	v_add_f64 v[40:41], v[54:55], v[40:41]
	v_mul_f64 v[54:55], v[148:149], s[34:35]
	s_waitcnt vmcnt(0)
	v_add_f64 v[52:53], v[52:53], -v[64:65]
	s_clause 0x1
	buffer_load_dword v64, off, s[60:63], 0 offset:132
	buffer_load_dword v65, off, s[60:63], 0 offset:136
	v_add_f64 v[42:43], v[52:53], v[42:43]
	v_mul_f64 v[52:53], v[158:159], s[16:17]
	s_waitcnt vmcnt(0)
	v_add_f64 v[56:57], v[64:65], v[56:57]
	s_clause 0x1
	buffer_load_dword v64, off, s[60:63], 0 offset:116
	buffer_load_dword v65, off, s[60:63], 0 offset:120
	v_add_f64 v[44:45], v[56:57], v[44:45]
	v_mul_f64 v[56:57], v[148:149], s[16:17]
	s_waitcnt vmcnt(0)
	v_add_f64 v[58:59], v[58:59], -v[64:65]
	s_clause 0x1
	buffer_load_dword v64, off, s[60:63], 0 offset:524
	buffer_load_dword v65, off, s[60:63], 0 offset:528
	v_add_f64 v[48:49], v[58:59], v[48:49]
	v_add_f64 v[58:59], v[197:198], v[76:77]
	;; [unrolled: 1-line block ×3, first 2 shown]
	s_waitcnt vmcnt(0)
	v_add_f64 v[62:63], v[62:63], -v[64:65]
	s_clause 0x1
	buffer_load_dword v64, off, s[60:63], 0 offset:380
	buffer_load_dword v65, off, s[60:63], 0 offset:384
	v_add_f64 v[38:39], v[62:63], v[38:39]
	v_mul_f64 v[62:63], v[162:163], s[8:9]
	v_add_f64 v[62:63], v[62:63], -v[253:254]
	s_waitcnt vmcnt(0)
	v_add_f64 v[60:61], v[64:65], v[60:61]
	s_clause 0x1
	buffer_load_dword v64, off, s[60:63], 0 offset:372
	buffer_load_dword v65, off, s[60:63], 0 offset:376
	v_add_f64 v[40:41], v[60:61], v[40:41]
	v_mul_f64 v[60:61], v[154:155], s[16:17]
	s_waitcnt vmcnt(0)
	v_add_f64 v[54:55], v[54:55], -v[64:65]
	s_clause 0x1
	buffer_load_dword v64, off, s[60:63], 0 offset:212
	buffer_load_dword v65, off, s[60:63], 0 offset:216
	v_add_f64 v[42:43], v[54:55], v[42:43]
	v_add_f64 v[54:55], v[191:192], v[80:81]
	v_mul_f64 v[80:81], v[175:176], s[30:31]
	s_waitcnt vmcnt(0)
	v_add_f64 v[52:53], v[64:65], v[52:53]
	s_clause 0xb
	buffer_load_dword v64, off, s[60:63], 0 offset:180
	buffer_load_dword v65, off, s[60:63], 0 offset:184
	;; [unrolled: 1-line block ×12, first 2 shown]
	v_add_f64 v[44:45], v[52:53], v[44:45]
	v_mul_f64 v[52:53], v[154:155], s[30:31]
	s_waitcnt vmcnt(10)
	v_add_f64 v[56:57], v[56:57], -v[64:65]
	s_waitcnt vmcnt(8)
	v_add_f64 v[66:67], v[68:69], v[66:67]
	s_waitcnt vmcnt(6)
	v_add_f64 v[70:71], v[70:71], -v[72:73]
	v_mul_f64 v[72:73], v[166:167], s[8:9]
	v_add_f64 v[68:69], v[179:180], v[82:83]
	v_mul_f64 v[64:65], v[154:155], s[6:7]
	v_add_f64 v[48:49], v[56:57], v[48:49]
	;; [unrolled: 2-line block ×3, first 2 shown]
	s_waitcnt vmcnt(4)
	v_add_f64 v[72:73], v[74:75], v[72:73]
	v_mul_f64 v[74:75], v[154:155], s[8:9]
	v_add_f64 v[66:67], v[66:67], v[68:69]
	v_mul_f64 v[68:69], v[162:163], s[30:31]
	v_add_f64 v[64:65], v[64:65], -v[138:139]
	v_add_f64 v[56:57], v[92:93], v[56:57]
	v_mul_f64 v[92:93], v[122:123], s[18:19]
	v_add_f64 v[36:37], v[72:73], v[36:37]
	s_waitcnt vmcnt(2)
	v_add_f64 v[74:75], v[74:75], -v[76:77]
	v_mul_f64 v[76:77], v[166:167], s[16:17]
	v_mul_f64 v[72:73], v[162:163], s[6:7]
	v_add_f64 v[56:57], v[56:57], v[58:59]
	v_mul_f64 v[58:59], v[114:115], s[30:31]
	v_add_f64 v[38:39], v[74:75], v[38:39]
	s_waitcnt vmcnt(0)
	v_add_f64 v[76:77], v[78:79], v[76:77]
	s_clause 0x3
	buffer_load_dword v78, off, s[60:63], 0 offset:324
	buffer_load_dword v79, off, s[60:63], 0 offset:328
	;; [unrolled: 1-line block ×4, first 2 shown]
	v_add_f64 v[40:41], v[76:77], v[40:41]
	v_mul_f64 v[76:77], v[162:163], s[22:23]
	s_waitcnt vmcnt(2)
	v_add_f64 v[60:61], v[60:61], -v[78:79]
	v_mul_f64 v[78:79], v[166:167], s[30:31]
	v_add_f64 v[42:43], v[60:61], v[42:43]
	s_waitcnt vmcnt(0)
	v_add_f64 v[78:79], v[82:83], v[78:79]
	s_clause 0x1
	buffer_load_dword v82, off, s[60:63], 0 offset:196
	buffer_load_dword v83, off, s[60:63], 0 offset:200
	v_add_f64 v[44:45], v[78:79], v[44:45]
	v_mul_f64 v[78:79], v[162:163], s[34:35]
	s_waitcnt vmcnt(0)
	v_add_f64 v[52:53], v[52:53], -v[82:83]
	s_clause 0x1
	buffer_load_dword v82, off, s[60:63], 0 offset:580
	buffer_load_dword v83, off, s[60:63], 0 offset:584
	v_add_f64 v[48:49], v[52:53], v[48:49]
	v_add_f64 v[52:53], v[64:65], v[54:55]
	v_mul_f64 v[54:55], v[130:131], s[30:31]
	v_add_f64 v[52:53], v[62:63], v[52:53]
	v_fma_f64 v[62:63], v[114:115], s[16:17], -v[92:93]
	v_add_f64 v[54:55], v[247:248], v[54:55]
	v_fma_f64 v[92:93], v[114:115], s[16:17], v[92:93]
	s_waitcnt vmcnt(0)
	v_add_f64 v[80:81], v[82:83], v[80:81]
	s_clause 0x3
	buffer_load_dword v82, off, s[60:63], 0 offset:572
	buffer_load_dword v83, off, s[60:63], 0 offset:576
	;; [unrolled: 1-line block ×4, first 2 shown]
	s_waitcnt vmcnt(2)
	v_add_f64 v[68:69], v[68:69], -v[82:83]
	v_mul_f64 v[82:83], v[175:176], s[6:7]
	v_add_f64 v[68:69], v[68:69], v[34:35]
	s_waitcnt vmcnt(0)
	v_add_f64 v[82:83], v[84:85], v[82:83]
	s_clause 0x3
	buffer_load_dword v84, off, s[60:63], 0 offset:468
	buffer_load_dword v85, off, s[60:63], 0 offset:472
	;; [unrolled: 1-line block ×4, first 2 shown]
	v_add_f64 v[36:37], v[82:83], v[36:37]
	s_waitcnt vmcnt(2)
	v_add_f64 v[72:73], v[72:73], -v[84:85]
	v_mul_f64 v[84:85], v[175:176], s[22:23]
	v_add_f64 v[72:73], v[72:73], v[38:39]
	s_waitcnt vmcnt(0)
	v_add_f64 v[84:85], v[86:87], v[84:85]
	s_clause 0x3
	buffer_load_dword v86, off, s[60:63], 0 offset:308
	buffer_load_dword v87, off, s[60:63], 0 offset:312
	;; [unrolled: 1-line block ×4, first 2 shown]
	v_add_f64 v[40:41], v[84:85], v[40:41]
	s_waitcnt vmcnt(2)
	v_add_f64 v[76:77], v[76:77], -v[86:87]
	v_mul_f64 v[86:87], v[175:176], s[34:35]
	v_add_f64 v[76:77], v[76:77], v[42:43]
	s_waitcnt vmcnt(0)
	v_add_f64 v[86:87], v[88:89], v[86:87]
	s_clause 0x9
	buffer_load_dword v88, off, s[60:63], 0 offset:228
	buffer_load_dword v89, off, s[60:63], 0 offset:232
	;; [unrolled: 1-line block ×10, first 2 shown]
	v_add_f64 v[44:45], v[86:87], v[44:45]
	v_mul_f64 v[86:87], v[114:115], s[36:37]
	s_waitcnt vmcnt(8)
	v_add_f64 v[78:79], v[78:79], -v[88:89]
	s_waitcnt vmcnt(6)
	v_add_f64 v[58:59], v[58:59], -v[60:61]
	v_mul_f64 v[60:61], v[130:131], s[20:21]
	v_add_f64 v[48:49], v[78:79], v[48:49]
	v_mul_f64 v[78:79], v[122:123], s[38:39]
	s_waitcnt vmcnt(4)
	v_add_f64 v[60:61], v[64:65], v[60:61]
	v_add_f64 v[64:65], v[80:81], v[66:67]
	s_clause 0x7
	buffer_load_dword v80, off, s[60:63], 0 offset:452
	buffer_load_dword v81, off, s[60:63], 0 offset:456
	;; [unrolled: 1-line block ×8, first 2 shown]
	v_mul_f64 v[66:67], v[114:115], s[20:21]
	v_fma_f64 v[38:39], v[114:115], s[6:7], v[78:79]
	s_waitcnt vmcnt(10)
	v_add_f64 v[66:67], v[66:67], -v[70:71]
	v_mul_f64 v[70:71], v[130:131], s[34:35]
	v_add_f64 v[26:27], v[66:67], v[68:69]
	s_waitcnt vmcnt(8)
	v_add_f64 v[70:71], v[74:75], v[70:71]
	v_mul_f64 v[74:75], v[114:115], s[34:35]
	s_waitcnt vmcnt(6)
	v_add_f64 v[74:75], v[74:75], -v[80:81]
	v_mul_f64 v[80:81], v[130:131], s[8:9]
	s_waitcnt vmcnt(4)
	v_add_f64 v[80:81], v[82:83], v[80:81]
	v_mul_f64 v[82:83], v[114:115], s[8:9]
	s_waitcnt vmcnt(2)
	v_add_f64 v[82:83], v[82:83], -v[84:85]
	v_mul_f64 v[84:85], v[130:131], s[36:37]
	s_waitcnt vmcnt(0)
	v_add_f64 v[84:85], v[88:89], v[84:85]
	s_clause 0x3
	buffer_load_dword v88, off, s[60:63], 0 offset:260
	buffer_load_dword v89, off, s[60:63], 0 offset:264
	buffer_load_dword v0, off, s[60:63], 0
	buffer_load_dword v1, off, s[60:63], 0 offset:4
	s_waitcnt vmcnt(2)
	v_add_f64 v[86:87], v[86:87], -v[88:89]
	v_mul_f64 v[88:89], v[130:131], s[6:7]
	s_waitcnt vmcnt(1)
	v_mul_lo_u16 v0, v0, 17
	v_and_b32_e32 v0, 0xffff, v0
	s_waitcnt vmcnt(0)
	v_add_lshl_u32 v0, v1, v0, 4
	v_fma_f64 v[42:43], v[128:129], s[4:5], v[88:89]
	v_fma_f64 v[88:89], v[128:129], s[38:39], v[88:89]
	v_add_f64 v[34:35], v[42:43], v[50:51]
	v_fma_f64 v[50:51], v[114:115], s[6:7], -v[78:79]
	v_add_f64 v[78:79], v[14:15], v[32:33]
	v_add_f64 v[114:115], v[46:47], v[18:19]
	;; [unrolled: 1-line block ×19, first 2 shown]
	ds_write_b128 v0, v[8:11]
	ds_write_b128 v0, v[44:47] offset:16
	ds_write_b128 v0, v[40:43] offset:32
	;; [unrolled: 1-line block ×14, first 2 shown]
	s_clause 0x3
	buffer_load_dword v1, off, s[60:63], 0 offset:36
	buffer_load_dword v2, off, s[60:63], 0 offset:40
	;; [unrolled: 1-line block ×4, first 2 shown]
	s_waitcnt vmcnt(0)
	ds_write_b128 v0, v[1:4] offset:240
	s_clause 0x3
	buffer_load_dword v1, off, s[60:63], 0 offset:20
	buffer_load_dword v2, off, s[60:63], 0 offset:24
	;; [unrolled: 1-line block ×4, first 2 shown]
	s_waitcnt vmcnt(0)
	ds_write_b128 v0, v[1:4] offset:256
.LBB0_7:
	s_or_b32 exec_lo, exec_lo, s33
	s_load_dwordx4 s[4:7], s[0:1], 0x0
	s_waitcnt lgkmcnt(0)
	s_barrier
	buffer_gl0_inv
	s_clause 0x1
	buffer_load_dword v9, off, s[60:63], 0
	buffer_load_dword v10, off, s[60:63], 0 offset:4
	s_mov_b32 s24, 0xf8bb580b
	s_mov_b32 s8, 0x43842ef
	;; [unrolled: 1-line block ×26, first 2 shown]
	s_waitcnt vmcnt(1)
	v_and_b32_e32 v8, 0xff, v9
	s_waitcnt vmcnt(0)
	v_add_lshl_u32 v255, v10, v9, 4
	ds_read_b128 v[52:55], v255
	ds_read_b128 v[0:3], v255 offset:1360
	ds_read_b128 v[4:7], v255 offset:2720
	;; [unrolled: 1-line block ×10, first 2 shown]
	v_mul_lo_u16 v8, 0xf1, v8
	v_lshrrev_b16 v89, 12, v8
	v_mul_lo_u16 v8, v89, 17
	v_sub_nc_u16 v88, v9, v8
	v_mov_b32_e32 v8, 10
	v_mul_u32_u24_sdwa v8, v88, v8 dst_sel:DWORD dst_unused:UNUSED_PAD src0_sel:BYTE_0 src1_sel:DWORD
	v_lshlrev_b32_e32 v8, 4, v8
	s_clause 0x3
	global_load_dwordx4 v[11:14], v8, s[2:3] offset:48
	global_load_dwordx4 v[15:18], v8, s[2:3] offset:32
	global_load_dwordx4 v[30:33], v8, s[2:3] offset:16
	global_load_dwordx4 v[34:37], v8, s[2:3]
	s_waitcnt vmcnt(0) lgkmcnt(9)
	v_mul_f64 v[28:29], v[2:3], v[36:37]
	v_fma_f64 v[90:91], v[0:1], v[34:35], -v[28:29]
	v_mul_f64 v[0:1], v[0:1], v[36:37]
	v_fma_f64 v[92:93], v[2:3], v[34:35], v[0:1]
	s_waitcnt lgkmcnt(8)
	v_mul_f64 v[0:1], v[6:7], v[32:33]
	v_fma_f64 v[74:75], v[4:5], v[30:31], -v[0:1]
	v_mul_f64 v[0:1], v[4:5], v[32:33]
	buffer_store_dword v30, off, s[60:63], 0 offset:84 ; 4-byte Folded Spill
	buffer_store_dword v31, off, s[60:63], 0 offset:88 ; 4-byte Folded Spill
	buffer_store_dword v32, off, s[60:63], 0 offset:92 ; 4-byte Folded Spill
	buffer_store_dword v33, off, s[60:63], 0 offset:96 ; 4-byte Folded Spill
	v_fma_f64 v[72:73], v[6:7], v[30:31], v[0:1]
	s_waitcnt lgkmcnt(7)
	v_mul_f64 v[0:1], v[22:23], v[17:18]
	v_fma_f64 v[68:69], v[20:21], v[15:16], -v[0:1]
	v_mul_f64 v[0:1], v[20:21], v[17:18]
	buffer_store_dword v15, off, s[60:63], 0 offset:68 ; 4-byte Folded Spill
	buffer_store_dword v16, off, s[60:63], 0 offset:72 ; 4-byte Folded Spill
	buffer_store_dword v17, off, s[60:63], 0 offset:76 ; 4-byte Folded Spill
	buffer_store_dword v18, off, s[60:63], 0 offset:80 ; 4-byte Folded Spill
	;; [unrolled: 9-line block ×3, first 2 shown]
	v_fma_f64 v[60:61], v[26:27], v[11:12], v[0:1]
	s_clause 0x3
	global_load_dwordx4 v[23:26], v8, s[2:3] offset:112
	global_load_dwordx4 v[19:22], v8, s[2:3] offset:96
	;; [unrolled: 1-line block ×4, first 2 shown]
	s_waitcnt vmcnt(1) lgkmcnt(4)
	v_mul_f64 v[4:5], v[44:45], v[13:14]
	s_waitcnt vmcnt(0)
	v_mul_f64 v[0:1], v[42:43], v[17:18]
	v_mul_f64 v[2:3], v[40:41], v[17:18]
	v_fma_f64 v[0:1], v[40:41], v[15:16], -v[0:1]
	buffer_store_dword v15, off, s[60:63], 0 offset:116 ; 4-byte Folded Spill
	buffer_store_dword v16, off, s[60:63], 0 offset:120 ; 4-byte Folded Spill
	;; [unrolled: 1-line block ×4, first 2 shown]
	s_waitcnt lgkmcnt(2)
	v_mul_f64 v[40:41], v[78:79], v[25:26]
	v_fma_f64 v[70:71], v[76:77], v[23:24], -v[40:41]
	v_mul_f64 v[40:41], v[76:77], v[25:26]
	v_fma_f64 v[56:57], v[42:43], v[15:16], v[2:3]
	v_mul_f64 v[2:3], v[46:47], v[13:14]
	v_fma_f64 v[2:3], v[44:45], v[11:12], -v[2:3]
	buffer_store_dword v11, off, s[60:63], 0 offset:100 ; 4-byte Folded Spill
	buffer_store_dword v12, off, s[60:63], 0 offset:104 ; 4-byte Folded Spill
	;; [unrolled: 1-line block ×4, first 2 shown]
	v_fma_f64 v[58:59], v[46:47], v[11:12], v[4:5]
	v_mul_f64 v[4:5], v[50:51], v[21:22]
	v_fma_f64 v[62:63], v[48:49], v[19:20], -v[4:5]
	v_mul_f64 v[4:5], v[48:49], v[21:22]
	buffer_store_dword v19, off, s[60:63], 0 offset:132 ; 4-byte Folded Spill
	buffer_store_dword v20, off, s[60:63], 0 offset:136 ; 4-byte Folded Spill
	;; [unrolled: 1-line block ×8, first 2 shown]
	s_clause 0x1
	global_load_dwordx4 v[11:14], v8, s[2:3] offset:144
	global_load_dwordx4 v[15:18], v8, s[2:3] offset:128
	v_fma_f64 v[4:5], v[50:51], v[19:20], v[4:5]
	v_fma_f64 v[66:67], v[78:79], v[23:24], v[40:41]
	v_add_f64 v[50:51], v[54:55], v[92:93]
	s_waitcnt vmcnt(0) lgkmcnt(1)
	v_mul_f64 v[48:49], v[82:83], v[17:18]
	v_add_f64 v[50:51], v[50:51], v[72:73]
	v_fma_f64 v[78:79], v[80:81], v[15:16], -v[48:49]
	v_mul_f64 v[48:49], v[80:81], v[17:18]
	buffer_store_dword v15, off, s[60:63], 0 offset:180 ; 4-byte Folded Spill
	buffer_store_dword v16, off, s[60:63], 0 offset:184 ; 4-byte Folded Spill
	;; [unrolled: 1-line block ×4, first 2 shown]
	v_add_f64 v[50:51], v[50:51], v[64:65]
	v_add_f64 v[50:51], v[50:51], v[60:61]
	;; [unrolled: 1-line block ×6, first 2 shown]
	v_fma_f64 v[76:77], v[82:83], v[15:16], v[48:49]
	s_waitcnt lgkmcnt(0)
	v_mul_f64 v[48:49], v[86:87], v[13:14]
	v_add_f64 v[50:51], v[50:51], v[76:77]
	v_fma_f64 v[80:81], v[84:85], v[11:12], -v[48:49]
	v_mul_f64 v[48:49], v[84:85], v[13:14]
	buffer_store_dword v11, off, s[60:63], 0 offset:164 ; 4-byte Folded Spill
	buffer_store_dword v12, off, s[60:63], 0 offset:168 ; 4-byte Folded Spill
	;; [unrolled: 1-line block ×4, first 2 shown]
	s_waitcnt_vscnt null, 0x0
	s_barrier
	buffer_gl0_inv
	v_add_f64 v[84:85], v[90:91], v[80:81]
	v_fma_f64 v[82:83], v[86:87], v[11:12], v[48:49]
	v_add_f64 v[48:49], v[52:53], v[90:91]
	v_add_f64 v[50:51], v[50:51], v[82:83]
	v_add_f64 v[48:49], v[48:49], v[74:75]
	v_add_f64 v[86:87], v[92:93], v[82:83]
	v_add_f64 v[82:83], v[92:93], -v[82:83]
	v_add_f64 v[48:49], v[48:49], v[68:69]
	v_mul_f64 v[114:115], v[82:83], s[10:11]
	v_mul_f64 v[122:123], v[82:83], s[8:9]
	;; [unrolled: 1-line block ×3, first 2 shown]
	v_add_f64 v[48:49], v[48:49], v[6:7]
	v_fma_f64 v[116:117], v[84:85], s[16:17], -v[114:115]
	v_fma_f64 v[114:115], v[84:85], s[16:17], v[114:115]
	v_fma_f64 v[124:125], v[84:85], s[0:1], -v[122:123]
	v_fma_f64 v[122:123], v[84:85], s[0:1], v[122:123]
	;; [unrolled: 2-line block ×3, first 2 shown]
	v_add_f64 v[48:49], v[48:49], v[0:1]
	v_add_f64 v[116:117], v[52:53], v[116:117]
	;; [unrolled: 1-line block ×12, first 2 shown]
	v_add_f64 v[80:81], v[90:91], -v[80:81]
	v_mul_f64 v[90:91], v[82:83], s[24:25]
	v_mul_f64 v[82:83], v[82:83], s[26:27]
	;; [unrolled: 1-line block ×3, first 2 shown]
	v_fma_f64 v[92:93], v[84:85], s[18:19], -v[90:91]
	v_fma_f64 v[90:91], v[84:85], s[18:19], v[90:91]
	v_mul_f64 v[118:119], v[80:81], s[10:11]
	v_mul_f64 v[126:127], v[80:81], s[8:9]
	;; [unrolled: 1-line block ×3, first 2 shown]
	v_fma_f64 v[138:139], v[84:85], s[28:29], -v[82:83]
	v_mul_f64 v[80:81], v[80:81], s[26:27]
	v_fma_f64 v[82:83], v[84:85], s[28:29], v[82:83]
	v_fma_f64 v[112:113], v[86:87], s[18:19], v[94:95]
	v_add_f64 v[92:93], v[52:53], v[92:93]
	v_add_f64 v[90:91], v[52:53], v[90:91]
	v_fma_f64 v[94:95], v[86:87], s[18:19], -v[94:95]
	v_fma_f64 v[120:121], v[86:87], s[16:17], v[118:119]
	v_fma_f64 v[118:119], v[86:87], s[16:17], -v[118:119]
	v_fma_f64 v[128:129], v[86:87], s[0:1], v[126:127]
	;; [unrolled: 2-line block ×3, first 2 shown]
	v_fma_f64 v[134:135], v[86:87], s[22:23], -v[134:135]
	v_add_f64 v[138:139], v[52:53], v[138:139]
	v_fma_f64 v[140:141], v[86:87], s[28:29], v[80:81]
	v_add_f64 v[52:53], v[52:53], v[82:83]
	v_fma_f64 v[80:81], v[86:87], s[28:29], -v[80:81]
	v_add_f64 v[82:83], v[72:73], v[76:77]
	v_add_f64 v[72:73], v[72:73], -v[76:77]
	v_add_f64 v[112:113], v[54:55], v[112:113]
	v_add_f64 v[94:95], v[54:55], v[94:95]
	;; [unrolled: 1-line block ×11, first 2 shown]
	v_mul_f64 v[76:77], v[72:73], s[10:11]
	v_add_f64 v[74:75], v[74:75], -v[78:79]
	v_fma_f64 v[78:79], v[80:81], s[16:17], -v[76:77]
	v_fma_f64 v[76:77], v[80:81], s[16:17], v[76:77]
	v_mul_f64 v[84:85], v[74:75], s[10:11]
	s_mov_b32 s11, 0x3fed1bb4
	v_add_f64 v[78:79], v[78:79], v[92:93]
	v_add_f64 v[76:77], v[76:77], v[90:91]
	v_mul_f64 v[90:91], v[72:73], s[20:21]
	v_fma_f64 v[86:87], v[82:83], s[16:17], v[84:85]
	v_fma_f64 v[84:85], v[82:83], s[16:17], -v[84:85]
	v_fma_f64 v[92:93], v[80:81], s[22:23], -v[90:91]
	v_fma_f64 v[90:91], v[80:81], s[22:23], v[90:91]
	v_add_f64 v[84:85], v[84:85], v[94:95]
	v_mul_f64 v[94:95], v[74:75], s[20:21]
	v_add_f64 v[86:87], v[86:87], v[112:113]
	v_add_f64 v[92:93], v[92:93], v[116:117]
	;; [unrolled: 1-line block ×3, first 2 shown]
	v_mul_f64 v[114:115], v[72:73], s[36:37]
	v_fma_f64 v[112:113], v[82:83], s[22:23], v[94:95]
	v_fma_f64 v[94:95], v[82:83], s[22:23], -v[94:95]
	v_fma_f64 v[116:117], v[80:81], s[28:29], -v[114:115]
	v_fma_f64 v[114:115], v[80:81], s[28:29], v[114:115]
	v_add_f64 v[94:95], v[94:95], v[118:119]
	v_mul_f64 v[118:119], v[74:75], s[36:37]
	v_add_f64 v[112:113], v[112:113], v[120:121]
	v_add_f64 v[116:117], v[116:117], v[124:125]
	;; [unrolled: 1-line block ×3, first 2 shown]
	v_mul_f64 v[122:123], v[72:73], s[34:35]
	v_fma_f64 v[120:121], v[82:83], s[28:29], v[118:119]
	v_fma_f64 v[118:119], v[82:83], s[28:29], -v[118:119]
	v_mul_f64 v[72:73], v[72:73], s[30:31]
	v_fma_f64 v[124:125], v[80:81], s[0:1], -v[122:123]
	v_fma_f64 v[122:123], v[80:81], s[0:1], v[122:123]
	v_add_f64 v[118:119], v[118:119], v[126:127]
	v_mul_f64 v[126:127], v[74:75], s[34:35]
	v_mul_f64 v[74:75], v[74:75], s[30:31]
	v_add_f64 v[120:121], v[120:121], v[128:129]
	v_add_f64 v[124:125], v[124:125], v[132:133]
	v_add_f64 v[122:123], v[122:123], v[130:131]
	v_fma_f64 v[130:131], v[80:81], s[18:19], -v[72:73]
	v_fma_f64 v[72:73], v[80:81], s[18:19], v[72:73]
	v_fma_f64 v[132:133], v[82:83], s[18:19], v[74:75]
	;; [unrolled: 1-line block ×3, first 2 shown]
	v_fma_f64 v[126:127], v[82:83], s[0:1], -v[126:127]
	v_add_f64 v[130:131], v[130:131], v[138:139]
	v_add_f64 v[52:53], v[72:73], v[52:53]
	v_fma_f64 v[72:73], v[82:83], s[18:19], -v[74:75]
	v_add_f64 v[74:75], v[64:65], v[66:67]
	v_add_f64 v[64:65], v[64:65], -v[66:67]
	v_add_f64 v[126:127], v[126:127], v[134:135]
	v_add_f64 v[128:129], v[128:129], v[136:137]
	;; [unrolled: 1-line block ×5, first 2 shown]
	v_mul_f64 v[66:67], v[64:65], s[8:9]
	v_add_f64 v[68:69], v[68:69], -v[70:71]
	v_fma_f64 v[70:71], v[72:73], s[0:1], -v[66:67]
	v_fma_f64 v[66:67], v[72:73], s[0:1], v[66:67]
	v_add_f64 v[70:71], v[70:71], v[78:79]
	v_mul_f64 v[78:79], v[68:69], s[8:9]
	v_add_f64 v[66:67], v[66:67], v[76:77]
	v_fma_f64 v[80:81], v[74:75], s[0:1], v[78:79]
	v_fma_f64 v[76:77], v[74:75], s[0:1], -v[78:79]
	v_mul_f64 v[78:79], v[64:65], s[36:37]
	v_add_f64 v[80:81], v[80:81], v[86:87]
	v_add_f64 v[76:77], v[76:77], v[84:85]
	v_fma_f64 v[82:83], v[72:73], s[28:29], -v[78:79]
	v_fma_f64 v[78:79], v[72:73], s[28:29], v[78:79]
	v_mul_f64 v[84:85], v[68:69], s[36:37]
	v_add_f64 v[82:83], v[82:83], v[92:93]
	v_add_f64 v[78:79], v[78:79], v[90:91]
	v_mul_f64 v[90:91], v[64:65], s[10:11]
	v_fma_f64 v[86:87], v[74:75], s[28:29], v[84:85]
	v_fma_f64 v[84:85], v[74:75], s[28:29], -v[84:85]
	v_fma_f64 v[92:93], v[72:73], s[16:17], -v[90:91]
	v_fma_f64 v[90:91], v[72:73], s[16:17], v[90:91]
	v_add_f64 v[84:85], v[84:85], v[94:95]
	v_mul_f64 v[94:95], v[68:69], s[10:11]
	v_add_f64 v[86:87], v[86:87], v[112:113]
	v_add_f64 v[92:93], v[92:93], v[116:117]
	;; [unrolled: 1-line block ×3, first 2 shown]
	v_mul_f64 v[114:115], v[64:65], s[24:25]
	v_fma_f64 v[112:113], v[74:75], s[16:17], v[94:95]
	v_fma_f64 v[94:95], v[74:75], s[16:17], -v[94:95]
	v_mul_f64 v[64:65], v[64:65], s[20:21]
	v_fma_f64 v[116:117], v[72:73], s[18:19], -v[114:115]
	v_fma_f64 v[114:115], v[72:73], s[18:19], v[114:115]
	v_add_f64 v[94:95], v[94:95], v[118:119]
	v_mul_f64 v[118:119], v[68:69], s[24:25]
	v_mul_f64 v[68:69], v[68:69], s[20:21]
	v_add_f64 v[112:113], v[112:113], v[120:121]
	v_add_f64 v[116:117], v[116:117], v[124:125]
	;; [unrolled: 1-line block ×3, first 2 shown]
	v_fma_f64 v[122:123], v[72:73], s[22:23], -v[64:65]
	v_fma_f64 v[64:65], v[72:73], s[22:23], v[64:65]
	v_fma_f64 v[124:125], v[74:75], s[22:23], v[68:69]
	;; [unrolled: 1-line block ×3, first 2 shown]
	v_fma_f64 v[118:119], v[74:75], s[18:19], -v[118:119]
	v_add_f64 v[122:123], v[122:123], v[130:131]
	v_add_f64 v[52:53], v[64:65], v[52:53]
	v_fma_f64 v[64:65], v[74:75], s[22:23], -v[68:69]
	v_add_f64 v[68:69], v[60:61], v[4:5]
	v_add_f64 v[4:5], v[60:61], -v[4:5]
	v_add_f64 v[118:119], v[118:119], v[126:127]
	v_add_f64 v[120:121], v[120:121], v[128:129]
	;; [unrolled: 1-line block ×5, first 2 shown]
	v_mul_f64 v[60:61], v[4:5], s[20:21]
	v_add_f64 v[6:7], v[6:7], -v[62:63]
	v_fma_f64 v[62:63], v[64:65], s[22:23], -v[60:61]
	v_fma_f64 v[60:61], v[64:65], s[22:23], v[60:61]
	v_add_f64 v[62:63], v[62:63], v[70:71]
	v_mul_f64 v[70:71], v[6:7], s[20:21]
	v_add_f64 v[60:61], v[60:61], v[66:67]
	v_fma_f64 v[72:73], v[68:69], s[22:23], v[70:71]
	v_fma_f64 v[66:67], v[68:69], s[22:23], -v[70:71]
	v_mul_f64 v[70:71], v[4:5], s[34:35]
	v_add_f64 v[72:73], v[72:73], v[80:81]
	v_add_f64 v[66:67], v[66:67], v[76:77]
	v_fma_f64 v[74:75], v[64:65], s[0:1], -v[70:71]
	v_mul_f64 v[76:77], v[6:7], s[34:35]
	v_fma_f64 v[70:71], v[64:65], s[0:1], v[70:71]
	v_add_f64 v[74:75], v[74:75], v[82:83]
	v_fma_f64 v[80:81], v[68:69], s[0:1], v[76:77]
	v_add_f64 v[70:71], v[70:71], v[78:79]
	v_mul_f64 v[78:79], v[4:5], s[24:25]
	v_fma_f64 v[76:77], v[68:69], s[0:1], -v[76:77]
	v_add_f64 v[126:127], v[80:81], v[86:87]
	v_fma_f64 v[80:81], v[64:65], s[18:19], -v[78:79]
	v_fma_f64 v[78:79], v[64:65], s[18:19], v[78:79]
	v_add_f64 v[76:77], v[76:77], v[84:85]
	v_add_f64 v[92:93], v[80:81], v[92:93]
	v_mul_f64 v[80:81], v[6:7], s[24:25]
	v_add_f64 v[78:79], v[78:79], v[90:91]
	v_fma_f64 v[82:83], v[68:69], s[18:19], v[80:81]
	v_fma_f64 v[80:81], v[68:69], s[18:19], -v[80:81]
	v_add_f64 v[112:113], v[82:83], v[112:113]
	v_add_f64 v[90:91], v[80:81], v[94:95]
	v_mul_f64 v[80:81], v[4:5], s[26:27]
	v_mul_f64 v[4:5], v[4:5], s[10:11]
	v_fma_f64 v[82:83], v[64:65], s[28:29], -v[80:81]
	v_fma_f64 v[80:81], v[64:65], s[28:29], v[80:81]
	v_add_f64 v[94:95], v[82:83], v[116:117]
	v_mul_f64 v[82:83], v[6:7], s[26:27]
	v_add_f64 v[114:115], v[80:81], v[114:115]
	v_mul_f64 v[6:7], v[6:7], s[10:11]
	v_fma_f64 v[80:81], v[68:69], s[28:29], -v[82:83]
	v_fma_f64 v[84:85], v[68:69], s[28:29], v[82:83]
	v_add_f64 v[82:83], v[0:1], v[2:3]
	v_add_f64 v[0:1], v[0:1], -v[2:3]
	v_add_f64 v[2:3], v[56:57], -v[58:59]
	v_add_f64 v[118:119], v[80:81], v[118:119]
	v_fma_f64 v[80:81], v[64:65], s[16:17], -v[4:5]
	v_add_f64 v[116:117], v[84:85], v[120:121]
	v_fma_f64 v[4:5], v[64:65], s[16:17], v[4:5]
	v_mul_f64 v[64:65], v[2:3], s[20:21]
	v_add_f64 v[84:85], v[80:81], v[122:123]
	v_fma_f64 v[80:81], v[68:69], s[16:17], v[6:7]
	v_add_f64 v[86:87], v[80:81], v[124:125]
	v_add_f64 v[80:81], v[4:5], v[52:53]
	v_fma_f64 v[4:5], v[68:69], s[16:17], -v[6:7]
	v_add_f64 v[6:7], v[56:57], v[58:59]
	v_mul_f64 v[56:57], v[2:3], s[26:27]
	v_mul_f64 v[58:59], v[0:1], s[26:27]
	v_add_f64 v[4:5], v[4:5], v[54:55]
	v_fma_f64 v[52:53], v[82:83], s[28:29], -v[56:57]
	v_fma_f64 v[56:57], v[82:83], s[28:29], v[56:57]
	v_fma_f64 v[54:55], v[6:7], s[28:29], v[58:59]
	v_add_f64 v[52:53], v[52:53], v[62:63]
	v_add_f64 v[136:137], v[56:57], v[60:61]
	v_fma_f64 v[56:57], v[6:7], s[28:29], -v[58:59]
	v_add_f64 v[54:55], v[54:55], v[72:73]
	v_add_f64 v[138:139], v[56:57], v[66:67]
	v_fma_f64 v[66:67], v[82:83], s[22:23], -v[64:65]
	v_mul_f64 v[56:57], v[2:3], s[30:31]
	v_fma_f64 v[64:65], v[82:83], s[22:23], v[64:65]
	v_add_f64 v[72:73], v[66:67], v[92:93]
	v_mul_f64 v[66:67], v[0:1], s[20:21]
	v_fma_f64 v[58:59], v[82:83], s[18:19], -v[56:57]
	v_fma_f64 v[56:57], v[82:83], s[18:19], v[56:57]
	v_add_f64 v[64:65], v[64:65], v[78:79]
	v_fma_f64 v[68:69], v[6:7], s[22:23], v[66:67]
	v_add_f64 v[60:61], v[58:59], v[74:75]
	v_fma_f64 v[66:67], v[6:7], s[22:23], -v[66:67]
	v_mul_f64 v[58:59], v[0:1], s[30:31]
	v_add_f64 v[56:57], v[56:57], v[70:71]
	v_add_f64 v[74:75], v[68:69], v[112:113]
	v_mul_f64 v[68:69], v[2:3], s[10:11]
	v_mul_f64 v[2:3], v[2:3], s[8:9]
	v_add_f64 v[66:67], v[66:67], v[90:91]
	v_fma_f64 v[62:63], v[6:7], s[18:19], v[58:59]
	v_fma_f64 v[58:59], v[6:7], s[18:19], -v[58:59]
	v_fma_f64 v[70:71], v[82:83], s[16:17], -v[68:69]
	v_fma_f64 v[90:91], v[82:83], s[0:1], -v[2:3]
	v_fma_f64 v[68:69], v[82:83], s[16:17], v[68:69]
	v_add_f64 v[62:63], v[62:63], v[126:127]
	v_add_f64 v[58:59], v[58:59], v[76:77]
	v_add_f64 v[76:77], v[70:71], v[94:95]
	v_add_f64 v[84:85], v[90:91], v[84:85]
	v_mul_f64 v[90:91], v[0:1], s[8:9]
	v_mul_f64 v[70:71], v[0:1], s[10:11]
	v_add_f64 v[68:69], v[68:69], v[114:115]
	v_fma_f64 v[0:1], v[6:7], s[0:1], v[90:91]
	v_fma_f64 v[78:79], v[6:7], s[16:17], v[70:71]
	v_fma_f64 v[70:71], v[6:7], s[16:17], -v[70:71]
	v_add_f64 v[86:87], v[0:1], v[86:87]
	v_fma_f64 v[0:1], v[82:83], s[0:1], v[2:3]
	v_fma_f64 v[2:3], v[6:7], s[0:1], -v[90:91]
	v_add_f64 v[78:79], v[78:79], v[116:117]
	v_add_f64 v[70:71], v[70:71], v[118:119]
	v_cmp_gt_u16_e64 s0, 17, v9
	v_add_f64 v[0:1], v[0:1], v[80:81]
	v_add_f64 v[2:3], v[2:3], v[4:5]
	v_mov_b32_e32 v4, 0xbb
	v_mul_u32_u24_sdwa v4, v89, v4 dst_sel:DWORD dst_unused:UNUSED_PAD src0_sel:WORD_0 src1_sel:DWORD
	v_add_nc_u32_sdwa v4, v4, v88 dst_sel:DWORD dst_unused:UNUSED_PAD src0_sel:DWORD src1_sel:BYTE_0
	v_add_lshl_u32 v204, v10, v4, 4
	ds_write_b128 v204, v[48:51]
	ds_write_b128 v204, v[52:55] offset:272
	ds_write_b128 v204, v[60:63] offset:544
	;; [unrolled: 1-line block ×10, first 2 shown]
	s_waitcnt lgkmcnt(0)
	s_barrier
	buffer_gl0_inv
	ds_read_b128 v[116:119], v255
	ds_read_b128 v[152:155], v255 offset:2992
	ds_read_b128 v[148:151], v255 offset:5984
	;; [unrolled: 1-line block ×9, first 2 shown]
	s_and_saveexec_b32 s1, s0
	s_cbranch_execz .LBB0_9
; %bb.8:
	ds_read_b128 v[136:139], v255 offset:2720
	ds_read_b128 v[108:111], v255 offset:5712
	;; [unrolled: 1-line block ×5, first 2 shown]
.LBB0_9:
	s_or_b32 exec_lo, exec_lo, s1
	buffer_load_dword v8, off, s[60:63], 0  ; 4-byte Folded Reload
	s_mov_b32 s16, 0x134454ff
	s_mov_b32 s17, 0x3fee6f0e
	;; [unrolled: 1-line block ×5, first 2 shown]
	s_waitcnt vmcnt(0)
	v_lshlrev_b32_e32 v2, 6, v8
	v_add_co_u32 v3, s1, s2, v2
	v_add_co_ci_u32_e64 v4, null, s3, 0, s1
	v_add_co_u32 v0, s1, 0x800, v3
	v_add_co_ci_u32_e64 v1, s1, 0, v4, s1
	global_load_dwordx4 v[25:28], v[0:1], off offset:672
	v_add_co_u32 v0, s1, 0xaa0, v3
	v_add_co_ci_u32_e64 v1, s1, 0, v4, s1
	s_clause 0x2
	global_load_dwordx4 v[42:45], v[0:1], off offset:16
	global_load_dwordx4 v[29:32], v[0:1], off offset:32
	;; [unrolled: 1-line block ×3, first 2 shown]
	v_add_nc_u32_e32 v0, 0x1540, v2
	v_add_co_u32 v2, s1, s2, v0
	v_add_co_ci_u32_e64 v3, null, s3, 0, s1
	v_add_co_u32 v0, s1, 0x800, v2
	v_add_co_ci_u32_e64 v1, s1, 0, v3, s1
	global_load_dwordx4 v[46:49], v[0:1], off offset:672
	v_add_co_u32 v0, s1, 0xaa0, v2
	v_add_co_ci_u32_e64 v1, s1, 0, v3, s1
	v_add_co_u32 v2, s1, 0xaa, v8
	v_add_co_u32 v3, s8, 0xffffffef, v8
	v_add_co_ci_u32_e64 v4, null, 0, 0, s1
	v_add_co_ci_u32_e64 v5, null, 0, -1, s8
	v_cndmask_b32_e64 v2, v3, v2, s0
	s_clause 0x2
	global_load_dwordx4 v[54:57], v[0:1], off offset:16
	global_load_dwordx4 v[50:53], v[0:1], off offset:32
	;; [unrolled: 1-line block ×3, first 2 shown]
	v_cndmask_b32_e64 v3, v5, v4, s0
	s_mov_b32 s8, 0x4755a5e
	s_mov_b32 s9, 0x3fe2cf23
	;; [unrolled: 1-line block ×3, first 2 shown]
	v_lshlrev_b64 v[0:1], 6, v[2:3]
	v_add_co_u32 v2, s1, s2, v0
	v_add_co_ci_u32_e64 v3, s1, s3, v1, s1
	s_mov_b32 s2, 0x372fe950
	v_add_co_u32 v0, s1, 0x800, v2
	v_add_co_ci_u32_e64 v1, s1, 0, v3, s1
	s_mov_b32 s3, 0x3fd3c6ef
	global_load_dwordx4 v[9:12], v[0:1], off offset:672
	v_add_co_u32 v0, s1, 0xaa0, v2
	v_add_co_ci_u32_e64 v1, s1, 0, v3, s1
	s_clause 0x2
	global_load_dwordx4 v[21:24], v[0:1], off offset:16
	global_load_dwordx4 v[17:20], v[0:1], off offset:32
	;; [unrolled: 1-line block ×3, first 2 shown]
	s_waitcnt vmcnt(11) lgkmcnt(8)
	v_mul_f64 v[0:1], v[154:155], v[27:28]
	v_mul_f64 v[2:3], v[152:153], v[27:28]
	s_waitcnt vmcnt(10) lgkmcnt(7)
	v_mul_f64 v[4:5], v[150:151], v[44:45]
	v_fma_f64 v[162:163], v[152:153], v[25:26], -v[0:1]
	buffer_store_dword v25, off, s[60:63], 0 offset:196 ; 4-byte Folded Spill
	buffer_store_dword v26, off, s[60:63], 0 offset:200 ; 4-byte Folded Spill
	;; [unrolled: 1-line block ×4, first 2 shown]
	v_mul_f64 v[0:1], v[148:149], v[44:45]
	v_fma_f64 v[166:167], v[148:149], v[42:43], -v[4:5]
	buffer_store_dword v42, off, s[60:63], 0 offset:244 ; 4-byte Folded Spill
	buffer_store_dword v43, off, s[60:63], 0 offset:248 ; 4-byte Folded Spill
	;; [unrolled: 1-line block ×4, first 2 shown]
	s_waitcnt vmcnt(8) lgkmcnt(5)
	v_mul_f64 v[4:5], v[134:135], v[40:41]
	v_fma_f64 v[164:165], v[154:155], v[25:26], v[2:3]
	v_mul_f64 v[2:3], v[146:147], v[31:32]
	v_fma_f64 v[168:169], v[150:151], v[42:43], v[0:1]
	v_mul_f64 v[0:1], v[144:145], v[31:32]
	v_fma_f64 v[144:145], v[144:145], v[29:30], -v[2:3]
	buffer_store_dword v29, off, s[60:63], 0 offset:212 ; 4-byte Folded Spill
	buffer_store_dword v30, off, s[60:63], 0 offset:216 ; 4-byte Folded Spill
	;; [unrolled: 1-line block ×4, first 2 shown]
	s_waitcnt vmcnt(7) lgkmcnt(3)
	v_mul_f64 v[2:3], v[142:143], v[48:49]
	v_fma_f64 v[154:155], v[140:141], v[46:47], -v[2:3]
	s_waitcnt vmcnt(5) lgkmcnt(1)
	v_mul_f64 v[2:3], v[126:127], v[52:53]
	v_fma_f64 v[158:159], v[124:125], v[50:51], -v[2:3]
	s_waitcnt vmcnt(3)
	v_mul_f64 v[2:3], v[110:111], v[11:12]
	v_fma_f64 v[148:149], v[108:109], v[9:10], -v[2:3]
	s_waitcnt vmcnt(1)
	v_mul_f64 v[2:3], v[102:103], v[19:20]
	v_fma_f64 v[146:147], v[146:147], v[29:30], v[0:1]
	v_mul_f64 v[0:1], v[132:133], v[40:41]
	v_fma_f64 v[132:133], v[132:133], v[38:39], -v[4:5]
	buffer_store_dword v38, off, s[60:63], 0 offset:228 ; 4-byte Folded Spill
	buffer_store_dword v39, off, s[60:63], 0 offset:232 ; 4-byte Folded Spill
	;; [unrolled: 1-line block ×4, first 2 shown]
	v_mul_f64 v[4:5], v[130:131], v[56:57]
	v_fma_f64 v[160:161], v[128:129], v[54:55], -v[4:5]
	s_waitcnt lgkmcnt(0)
	v_mul_f64 v[4:5], v[122:123], v[94:95]
	v_fma_f64 v[134:135], v[134:135], v[38:39], v[0:1]
	v_mul_f64 v[0:1], v[140:141], v[48:49]
	buffer_store_dword v46, off, s[60:63], 0 offset:260 ; 4-byte Folded Spill
	buffer_store_dword v47, off, s[60:63], 0 offset:264 ; 4-byte Folded Spill
	;; [unrolled: 1-line block ×4, first 2 shown]
	v_fma_f64 v[152:153], v[142:143], v[46:47], v[0:1]
	v_mul_f64 v[0:1], v[128:129], v[56:57]
	buffer_store_dword v54, off, s[60:63], 0 offset:292 ; 4-byte Folded Spill
	buffer_store_dword v55, off, s[60:63], 0 offset:296 ; 4-byte Folded Spill
	;; [unrolled: 1-line block ×4, first 2 shown]
	v_add_f64 v[128:129], v[166:167], -v[144:145]
	v_fma_f64 v[156:157], v[130:131], v[54:55], v[0:1]
	v_mul_f64 v[0:1], v[124:125], v[52:53]
	buffer_store_dword v50, off, s[60:63], 0 offset:276 ; 4-byte Folded Spill
	buffer_store_dword v51, off, s[60:63], 0 offset:280 ; 4-byte Folded Spill
	;; [unrolled: 1-line block ×4, first 2 shown]
	v_fma_f64 v[124:125], v[126:127], v[50:51], v[0:1]
	v_mul_f64 v[0:1], v[120:121], v[94:95]
	v_fma_f64 v[126:127], v[120:121], v[92:93], -v[4:5]
	v_mul_f64 v[4:5], v[106:107], v[23:24]
	v_fma_f64 v[120:121], v[122:123], v[92:93], v[0:1]
	v_mul_f64 v[0:1], v[108:109], v[11:12]
	buffer_store_dword v9, off, s[60:63], 0 offset:308 ; 4-byte Folded Spill
	buffer_store_dword v10, off, s[60:63], 0 offset:312 ; 4-byte Folded Spill
	;; [unrolled: 1-line block ×4, first 2 shown]
	v_fma_f64 v[150:151], v[104:105], v[21:22], -v[4:5]
	v_fma_f64 v[4:5], v[100:101], v[17:18], -v[2:3]
	s_waitcnt vmcnt(0)
	v_mul_f64 v[2:3], v[96:97], v[15:16]
	v_add_f64 v[108:109], v[164:165], -v[134:135]
	v_add_f64 v[122:123], v[162:163], -v[132:133]
	v_fma_f64 v[6:7], v[110:111], v[9:10], v[0:1]
	v_mul_f64 v[0:1], v[104:105], v[23:24]
	buffer_store_dword v21, off, s[60:63], 0 offset:356 ; 4-byte Folded Spill
	buffer_store_dword v22, off, s[60:63], 0 offset:360 ; 4-byte Folded Spill
	;; [unrolled: 1-line block ×4, first 2 shown]
	v_mul_f64 v[104:105], v[98:99], v[15:16]
	v_add_f64 v[110:111], v[168:169], -v[146:147]
	v_fma_f64 v[140:141], v[96:97], v[13:14], -v[104:105]
	v_add_f64 v[96:97], v[162:163], -v[166:167]
	v_fma_f64 v[142:143], v[106:107], v[21:22], v[0:1]
	v_mul_f64 v[0:1], v[100:101], v[19:20]
	buffer_store_dword v17, off, s[60:63], 0 offset:340 ; 4-byte Folded Spill
	buffer_store_dword v18, off, s[60:63], 0 offset:344 ; 4-byte Folded Spill
	;; [unrolled: 1-line block ×8, first 2 shown]
	v_add_f64 v[100:101], v[164:165], -v[168:169]
	v_fma_f64 v[0:1], v[102:103], v[17:18], v[0:1]
	v_fma_f64 v[2:3], v[98:99], v[13:14], v[2:3]
	v_add_f64 v[98:99], v[132:133], -v[144:145]
	v_add_f64 v[96:97], v[96:97], v[98:99]
	v_add_f64 v[98:99], v[134:135], -v[146:147]
	v_add_f64 v[98:99], v[100:101], v[98:99]
	v_add_f64 v[100:101], v[166:167], v[144:145]
	v_fma_f64 v[104:105], v[100:101], -0.5, v[116:117]
	v_add_f64 v[100:101], v[168:169], v[146:147]
	v_fma_f64 v[106:107], v[100:101], -0.5, v[118:119]
	v_fma_f64 v[100:101], v[108:109], s[16:17], v[104:105]
	v_fma_f64 v[104:105], v[108:109], s[18:19], v[104:105]
	;; [unrolled: 1-line block ×9, first 2 shown]
	v_add_f64 v[96:97], v[162:163], v[132:133]
	v_fma_f64 v[106:107], v[128:129], s[8:9], v[106:107]
	v_fma_f64 v[102:103], v[98:99], s[2:3], v[102:103]
	v_fma_f64 v[130:131], v[96:97], -0.5, v[116:117]
	v_add_f64 v[96:97], v[164:165], v[134:135]
	v_fma_f64 v[106:107], v[98:99], s[2:3], v[106:107]
	v_add_f64 v[98:99], v[118:119], v[164:165]
	v_fma_f64 v[170:171], v[96:97], -0.5, v[118:119]
	v_add_f64 v[96:97], v[116:117], v[162:163]
	v_add_f64 v[98:99], v[98:99], v[168:169]
	v_add_f64 v[116:117], v[166:167], -v[162:163]
	v_add_f64 v[118:119], v[168:169], -v[164:165]
	;; [unrolled: 1-line block ×5, first 2 shown]
	v_add_f64 v[96:97], v[96:97], v[166:167]
	v_add_f64 v[98:99], v[98:99], v[146:147]
	v_add_f64 v[166:167], v[160:161], -v[158:159]
	v_add_f64 v[96:97], v[96:97], v[144:145]
	v_add_f64 v[144:145], v[144:145], -v[132:133]
	v_add_f64 v[98:99], v[98:99], v[134:135]
	v_add_f64 v[96:97], v[96:97], v[132:133]
	v_add_f64 v[132:133], v[146:147], -v[134:135]
	v_fma_f64 v[134:135], v[110:111], s[18:19], v[130:131]
	v_fma_f64 v[110:111], v[110:111], s[16:17], v[130:131]
	;; [unrolled: 1-line block ×4, first 2 shown]
	v_add_f64 v[116:117], v[116:117], v[144:145]
	v_add_f64 v[118:119], v[118:119], v[132:133]
	v_fma_f64 v[132:133], v[108:109], s[8:9], v[134:135]
	v_fma_f64 v[108:109], v[108:109], s[10:11], v[110:111]
	;; [unrolled: 1-line block ×7, first 2 shown]
	v_add_f64 v[110:111], v[154:155], -v[160:161]
	v_add_f64 v[108:109], v[126:127], -v[158:159]
	;; [unrolled: 1-line block ×3, first 2 shown]
	v_fma_f64 v[134:135], v[118:119], s[2:3], v[122:123]
	v_add_f64 v[118:119], v[156:157], v[124:125]
	v_add_f64 v[122:123], v[152:153], -v[120:121]
	v_add_f64 v[108:109], v[110:111], v[108:109]
	v_add_f64 v[110:111], v[120:121], -v[124:125]
	v_fma_f64 v[118:119], v[118:119], -0.5, v[114:115]
	v_add_f64 v[110:111], v[116:117], v[110:111]
	v_add_f64 v[116:117], v[160:161], v[158:159]
	v_fma_f64 v[146:147], v[164:165], s[18:19], v[118:119]
	v_fma_f64 v[118:119], v[164:165], s[16:17], v[118:119]
	v_fma_f64 v[116:117], v[116:117], -0.5, v[112:113]
	v_fma_f64 v[146:147], v[166:167], s[10:11], v[146:147]
	v_fma_f64 v[118:119], v[166:167], s[8:9], v[118:119]
	;; [unrolled: 1-line block ×6, first 2 shown]
	v_add_f64 v[118:119], v[152:153], v[120:121]
	v_fma_f64 v[144:145], v[162:163], s[8:9], v[144:145]
	v_fma_f64 v[116:117], v[162:163], s[10:11], v[116:117]
	v_fma_f64 v[118:119], v[118:119], -0.5, v[114:115]
	v_add_f64 v[114:115], v[114:115], v[152:153]
	v_fma_f64 v[144:145], v[108:109], s[2:3], v[144:145]
	v_fma_f64 v[108:109], v[108:109], s[2:3], v[116:117]
	v_add_f64 v[116:117], v[154:155], v[126:127]
	v_add_f64 v[114:115], v[114:115], v[156:157]
	v_add_f64 v[156:157], v[156:157], -v[152:153]
	v_fma_f64 v[116:117], v[116:117], -0.5, v[112:113]
	v_add_f64 v[112:113], v[112:113], v[154:155]
	v_add_f64 v[114:115], v[114:115], v[124:125]
	;; [unrolled: 1-line block ×3, first 2 shown]
	v_add_f64 v[160:161], v[6:7], -v[2:3]
	v_add_f64 v[154:155], v[114:115], v[120:121]
	v_fma_f64 v[114:115], v[162:163], s[18:19], v[116:117]
	v_fma_f64 v[116:117], v[162:163], s[16:17], v[116:117]
	v_add_f64 v[162:163], v[142:143], -v[0:1]
	v_add_f64 v[112:113], v[112:113], v[158:159]
	v_add_f64 v[158:159], v[158:159], -v[126:127]
	v_fma_f64 v[114:115], v[122:123], s[8:9], v[114:115]
	v_fma_f64 v[116:117], v[122:123], s[10:11], v[116:117]
	v_add_f64 v[152:153], v[112:113], v[126:127]
	v_add_f64 v[112:113], v[124:125], -v[120:121]
	v_fma_f64 v[120:121], v[166:167], s[16:17], v[118:119]
	v_fma_f64 v[118:119], v[166:167], s[18:19], v[118:119]
	v_add_f64 v[124:125], v[168:169], v[158:159]
	v_add_f64 v[166:167], v[150:151], -v[4:5]
	v_add_f64 v[112:113], v[156:157], v[112:113]
	v_fma_f64 v[122:123], v[164:165], s[10:11], v[120:121]
	v_fma_f64 v[118:119], v[164:165], s[8:9], v[118:119]
	;; [unrolled: 1-line block ×3, first 2 shown]
	v_add_f64 v[114:115], v[148:149], -v[150:151]
	v_fma_f64 v[116:117], v[124:125], s[2:3], v[116:117]
	v_add_f64 v[124:125], v[6:7], -v[142:143]
	v_add_f64 v[164:165], v[148:149], -v[140:141]
	v_fma_f64 v[122:123], v[112:113], s[2:3], v[122:123]
	v_fma_f64 v[118:119], v[112:113], s[2:3], v[118:119]
	v_add_f64 v[112:113], v[140:141], -v[4:5]
	v_add_f64 v[112:113], v[114:115], v[112:113]
	v_add_f64 v[114:115], v[2:3], -v[0:1]
	v_add_f64 v[114:115], v[124:125], v[114:115]
	v_add_f64 v[124:125], v[150:151], v[4:5]
	v_fma_f64 v[156:157], v[124:125], -0.5, v[136:137]
	v_add_f64 v[124:125], v[142:143], v[0:1]
	v_fma_f64 v[158:159], v[124:125], -0.5, v[138:139]
	v_fma_f64 v[124:125], v[160:161], s[16:17], v[156:157]
	v_fma_f64 v[156:157], v[160:161], s[18:19], v[156:157]
	;; [unrolled: 1-line block ×10, first 2 shown]
	v_add_f64 v[156:157], v[148:149], v[140:141]
	v_fma_f64 v[126:127], v[114:115], s[2:3], v[126:127]
	v_fma_f64 v[114:115], v[114:115], s[2:3], v[158:159]
	v_add_f64 v[158:159], v[6:7], v[2:3]
	v_fma_f64 v[156:157], v[156:157], -0.5, v[136:137]
	v_add_f64 v[136:137], v[136:137], v[148:149]
	v_add_f64 v[148:149], v[150:151], -v[148:149]
	v_fma_f64 v[158:159], v[158:159], -0.5, v[138:139]
	v_add_f64 v[138:139], v[138:139], v[6:7]
	v_add_f64 v[6:7], v[142:143], -v[6:7]
	v_add_f64 v[136:137], v[136:137], v[150:151]
	v_fma_f64 v[150:151], v[166:167], s[18:19], v[158:159]
	v_add_f64 v[138:139], v[138:139], v[142:143]
	v_fma_f64 v[142:143], v[166:167], s[16:17], v[158:159]
	v_add_f64 v[136:137], v[136:137], v[4:5]
	v_add_f64 v[4:5], v[4:5], -v[140:141]
	v_add_f64 v[138:139], v[138:139], v[0:1]
	v_add_f64 v[0:1], v[0:1], -v[2:3]
	v_add_f64 v[136:137], v[136:137], v[140:141]
	v_fma_f64 v[140:141], v[162:163], s[16:17], v[156:157]
	v_fma_f64 v[142:143], v[164:165], s[10:11], v[142:143]
	v_add_f64 v[4:5], v[148:149], v[4:5]
	v_add_f64 v[138:139], v[138:139], v[2:3]
	v_fma_f64 v[2:3], v[162:163], s[18:19], v[156:157]
	v_add_f64 v[0:1], v[6:7], v[0:1]
	v_fma_f64 v[156:157], v[164:165], s[8:9], v[150:151]
	v_fma_f64 v[6:7], v[160:161], s[10:11], v[140:141]
	;; [unrolled: 1-line block ×5, first 2 shown]
	buffer_load_dword v1, off, s[60:63], 0 offset:8 ; 4-byte Folded Reload
	v_fma_f64 v[140:141], v[4:5], s[2:3], v[6:7]
	v_lshlrev_b32_e32 v0, 4, v8
	v_fma_f64 v[148:149], v[4:5], s[2:3], v[2:3]
	s_waitcnt vmcnt(0)
	v_lshl_add_u32 v203, v8, 4, v1
	v_add_nc_u32_e32 v76, v0, v1
	ds_write_b128 v203, v[96:99]
	ds_write_b128 v203, v[100:103] offset:2992
	ds_write_b128 v203, v[128:131] offset:5984
	;; [unrolled: 1-line block ×9, first 2 shown]
	s_mov_b32 s1, exec_lo
	s_clause 0x7
	buffer_load_dword v10, off, s[60:63], 0 offset:20
	buffer_load_dword v11, off, s[60:63], 0 offset:24
	;; [unrolled: 1-line block ×8, first 2 shown]
	s_and_b32 s2, s1, s0
	s_mov_b32 exec_lo, s2
	s_cbranch_execz .LBB0_11
; %bb.10:
	ds_write_b128 v203, v[136:139] offset:2720
	ds_write_b128 v203, v[124:127] offset:5712
	;; [unrolled: 1-line block ×5, first 2 shown]
.LBB0_11:
	s_or_b32 exec_lo, exec_lo, s1
	s_waitcnt vmcnt(0) lgkmcnt(0)
	s_waitcnt_vscnt null, 0x0
	s_barrier
	buffer_gl0_inv
	s_and_saveexec_b32 s2, vcc_lo
	s_cbranch_execz .LBB0_13
; %bb.12:
	buffer_load_dword v0, off, s[60:63], 0  ; 4-byte Folded Reload
	ds_read_b128 v[2:5], v203
	s_waitcnt vmcnt(0)
	v_lshlrev_b32_e32 v0, 4, v0
	v_add_co_u32 v1, s1, s12, v0
	v_add_co_ci_u32_e64 v0, null, s13, 0, s1
	v_add_co_u32 v6, s1, 0x3a70, v1
	v_add_co_ci_u32_e64 v7, s1, 0, v0, s1
	v_add_co_u32 v156, s1, 0x3800, v1
	v_add_co_ci_u32_e64 v157, s1, 0, v0, s1
	global_load_dwordx4 v[156:159], v[156:157], off offset:624
	s_waitcnt vmcnt(0) lgkmcnt(0)
	v_mul_f64 v[160:161], v[4:5], v[158:159]
	v_fma_f64 v[160:161], v[2:3], v[156:157], -v[160:161]
	v_mul_f64 v[2:3], v[2:3], v[158:159]
	v_fma_f64 v[162:163], v[4:5], v[156:157], v[2:3]
	global_load_dwordx4 v[156:159], v[6:7], off offset:880
	ds_read_b128 v[2:5], v203 offset:880
	ds_write_b128 v203, v[160:163]
	s_waitcnt vmcnt(0) lgkmcnt(1)
	v_mul_f64 v[160:161], v[4:5], v[158:159]
	v_fma_f64 v[160:161], v[2:3], v[156:157], -v[160:161]
	v_mul_f64 v[2:3], v[2:3], v[158:159]
	v_fma_f64 v[162:163], v[4:5], v[156:157], v[2:3]
	global_load_dwordx4 v[156:159], v[6:7], off offset:1760
	ds_read_b128 v[2:5], v203 offset:1760
	ds_write_b128 v203, v[160:163] offset:880
	s_waitcnt vmcnt(0) lgkmcnt(1)
	v_mul_f64 v[6:7], v[4:5], v[158:159]
	v_fma_f64 v[160:161], v[2:3], v[156:157], -v[6:7]
	v_mul_f64 v[2:3], v[2:3], v[158:159]
	v_add_co_u32 v6, s1, 0x4000, v1
	v_add_co_ci_u32_e64 v7, s1, 0, v0, s1
	v_fma_f64 v[162:163], v[4:5], v[156:157], v[2:3]
	global_load_dwordx4 v[156:159], v[6:7], off offset:1216
	ds_read_b128 v[2:5], v203 offset:2640
	ds_write_b128 v203, v[160:163] offset:1760
	s_waitcnt vmcnt(0) lgkmcnt(1)
	v_mul_f64 v[6:7], v[4:5], v[158:159]
	v_fma_f64 v[160:161], v[2:3], v[156:157], -v[6:7]
	v_mul_f64 v[2:3], v[2:3], v[158:159]
	v_add_co_u32 v6, s1, 0x4800, v1
	v_add_co_ci_u32_e64 v7, s1, 0, v0, s1
	v_fma_f64 v[162:163], v[4:5], v[156:157], v[2:3]
	global_load_dwordx4 v[156:159], v[6:7], off offset:48
	ds_read_b128 v[2:5], v203 offset:3520
	ds_write_b128 v203, v[160:163] offset:2640
	s_waitcnt vmcnt(0) lgkmcnt(1)
	v_mul_f64 v[160:161], v[4:5], v[158:159]
	v_fma_f64 v[160:161], v[2:3], v[156:157], -v[160:161]
	v_mul_f64 v[2:3], v[2:3], v[158:159]
	v_fma_f64 v[162:163], v[4:5], v[156:157], v[2:3]
	global_load_dwordx4 v[156:159], v[6:7], off offset:928
	ds_read_b128 v[2:5], v203 offset:4400
	ds_write_b128 v203, v[160:163] offset:3520
	s_waitcnt vmcnt(0) lgkmcnt(1)
	v_mul_f64 v[160:161], v[4:5], v[158:159]
	v_fma_f64 v[160:161], v[2:3], v[156:157], -v[160:161]
	v_mul_f64 v[2:3], v[2:3], v[158:159]
	;; [unrolled: 8-line block ×3, first 2 shown]
	v_add_co_u32 v6, s1, 0x5000, v1
	v_add_co_ci_u32_e64 v7, s1, 0, v0, s1
	v_fma_f64 v[162:163], v[4:5], v[156:157], v[2:3]
	global_load_dwordx4 v[156:159], v[6:7], off offset:640
	ds_read_b128 v[2:5], v203 offset:6160
	ds_write_b128 v203, v[160:163] offset:5280
	s_waitcnt vmcnt(0) lgkmcnt(1)
	v_mul_f64 v[160:161], v[4:5], v[158:159]
	v_fma_f64 v[160:161], v[2:3], v[156:157], -v[160:161]
	v_mul_f64 v[2:3], v[2:3], v[158:159]
	v_fma_f64 v[162:163], v[4:5], v[156:157], v[2:3]
	global_load_dwordx4 v[156:159], v[6:7], off offset:1520
	ds_read_b128 v[2:5], v203 offset:7040
	ds_write_b128 v203, v[160:163] offset:6160
	s_waitcnt vmcnt(0) lgkmcnt(1)
	v_mul_f64 v[6:7], v[4:5], v[158:159]
	v_fma_f64 v[160:161], v[2:3], v[156:157], -v[6:7]
	v_mul_f64 v[2:3], v[2:3], v[158:159]
	v_add_co_u32 v6, s1, 0x5800, v1
	v_add_co_ci_u32_e64 v7, s1, 0, v0, s1
	v_fma_f64 v[162:163], v[4:5], v[156:157], v[2:3]
	global_load_dwordx4 v[156:159], v[6:7], off offset:352
	ds_read_b128 v[2:5], v203 offset:7920
	ds_write_b128 v203, v[160:163] offset:7040
	s_waitcnt vmcnt(0) lgkmcnt(1)
	v_mul_f64 v[160:161], v[4:5], v[158:159]
	v_fma_f64 v[160:161], v[2:3], v[156:157], -v[160:161]
	v_mul_f64 v[2:3], v[2:3], v[158:159]
	v_fma_f64 v[162:163], v[4:5], v[156:157], v[2:3]
	global_load_dwordx4 v[156:159], v[6:7], off offset:1232
	ds_read_b128 v[2:5], v203 offset:8800
	ds_write_b128 v203, v[160:163] offset:7920
	s_waitcnt vmcnt(0) lgkmcnt(1)
	v_mul_f64 v[6:7], v[4:5], v[158:159]
	v_fma_f64 v[160:161], v[2:3], v[156:157], -v[6:7]
	v_mul_f64 v[2:3], v[2:3], v[158:159]
	v_add_co_u32 v6, s1, 0x6000, v1
	v_add_co_ci_u32_e64 v7, s1, 0, v0, s1
	v_fma_f64 v[162:163], v[4:5], v[156:157], v[2:3]
	global_load_dwordx4 v[156:159], v[6:7], off offset:64
	ds_read_b128 v[2:5], v203 offset:9680
	ds_write_b128 v203, v[160:163] offset:8800
	s_waitcnt vmcnt(0) lgkmcnt(1)
	v_mul_f64 v[160:161], v[4:5], v[158:159]
	v_fma_f64 v[160:161], v[2:3], v[156:157], -v[160:161]
	v_mul_f64 v[2:3], v[2:3], v[158:159]
	v_fma_f64 v[162:163], v[4:5], v[156:157], v[2:3]
	global_load_dwordx4 v[156:159], v[6:7], off offset:944
	ds_read_b128 v[2:5], v203 offset:10560
	ds_write_b128 v203, v[160:163] offset:9680
	s_waitcnt vmcnt(0) lgkmcnt(1)
	v_mul_f64 v[160:161], v[4:5], v[158:159]
	v_fma_f64 v[160:161], v[2:3], v[156:157], -v[160:161]
	v_mul_f64 v[2:3], v[2:3], v[158:159]
	v_fma_f64 v[162:163], v[4:5], v[156:157], v[2:3]
	global_load_dwordx4 v[156:159], v[6:7], off offset:1824
	ds_read_b128 v[2:5], v203 offset:11440
	ds_write_b128 v203, v[160:163] offset:10560
	s_waitcnt vmcnt(0) lgkmcnt(1)
	v_mul_f64 v[6:7], v[4:5], v[158:159]
	v_fma_f64 v[160:161], v[2:3], v[156:157], -v[6:7]
	v_mul_f64 v[2:3], v[2:3], v[158:159]
	v_add_co_u32 v6, s1, 0x6800, v1
	v_add_co_ci_u32_e64 v7, s1, 0, v0, s1
	v_fma_f64 v[162:163], v[4:5], v[156:157], v[2:3]
	global_load_dwordx4 v[156:159], v[6:7], off offset:656
	ds_read_b128 v[2:5], v203 offset:12320
	ds_write_b128 v203, v[160:163] offset:11440
	s_waitcnt vmcnt(0) lgkmcnt(1)
	v_mul_f64 v[160:161], v[4:5], v[158:159]
	v_fma_f64 v[160:161], v[2:3], v[156:157], -v[160:161]
	v_mul_f64 v[2:3], v[2:3], v[158:159]
	v_fma_f64 v[162:163], v[4:5], v[156:157], v[2:3]
	global_load_dwordx4 v[156:159], v[6:7], off offset:1536
	ds_read_b128 v[2:5], v203 offset:13200
	ds_write_b128 v203, v[160:163] offset:12320
	s_waitcnt vmcnt(0) lgkmcnt(1)
	v_mul_f64 v[6:7], v[4:5], v[158:159]
	v_fma_f64 v[160:161], v[2:3], v[156:157], -v[6:7]
	v_mul_f64 v[2:3], v[2:3], v[158:159]
	v_add_co_u32 v6, s1, 0x7000, v1
	v_add_co_ci_u32_e64 v7, s1, 0, v0, s1
	v_fma_f64 v[162:163], v[4:5], v[156:157], v[2:3]
	global_load_dwordx4 v[156:159], v[6:7], off offset:368
	ds_read_b128 v[2:5], v203 offset:14080
	ds_write_b128 v203, v[160:163] offset:13200
	s_waitcnt vmcnt(0) lgkmcnt(1)
	v_mul_f64 v[0:1], v[4:5], v[158:159]
	v_fma_f64 v[0:1], v[2:3], v[156:157], -v[0:1]
	v_mul_f64 v[2:3], v[2:3], v[158:159]
	v_fma_f64 v[2:3], v[4:5], v[156:157], v[2:3]
	ds_write_b128 v203, v[0:3] offset:14080
.LBB0_13:
	s_or_b32 exec_lo, exec_lo, s2
	s_waitcnt lgkmcnt(0)
	s_barrier
	buffer_gl0_inv
	s_and_saveexec_b32 s1, vcc_lo
	s_cbranch_execz .LBB0_15
; %bb.14:
	ds_read_b128 v[96:99], v203
	ds_read_b128 v[100:103], v203 offset:880
	ds_read_b128 v[128:131], v203 offset:1760
	;; [unrolled: 1-line block ×16, first 2 shown]
.LBB0_15:
	s_or_b32 exec_lo, exec_lo, s1
	s_waitcnt lgkmcnt(0)
	v_add_f64 v[205:206], v[102:103], -v[12:13]
	v_add_f64 v[207:208], v[102:103], v[12:13]
	s_mov_b32 s8, 0x7c9e640b
	s_mov_b32 s2, 0x2b2883cd
	;; [unrolled: 1-line block ×4, first 2 shown]
	v_add_f64 v[201:202], v[100:101], v[10:11]
	v_add_f64 v[48:49], v[130:131], -v[16:17]
	v_add_f64 v[219:220], v[100:101], -v[10:11]
	v_add_f64 v[235:236], v[130:131], v[16:17]
	s_mov_b32 s10, 0x6c9a05f6
	s_mov_b32 s18, 0x6ed5f1bb
	;; [unrolled: 1-line block ×4, first 2 shown]
	v_add_f64 v[177:178], v[128:129], v[14:15]
	v_add_f64 v[50:51], v[134:135], -v[114:115]
	v_add_f64 v[185:186], v[128:129], -v[14:15]
	v_add_f64 v[183:184], v[134:135], v[114:115]
	s_mov_b32 s16, 0xacd6c6b4
	s_mov_b32 s20, 0x7faef3
	;; [unrolled: 1-line block ×4, first 2 shown]
	v_mul_f64 v[28:29], v[205:206], s[8:9]
	v_mul_f64 v[30:31], v[207:208], s[2:3]
	s_mov_b32 s28, s16
	s_mov_b32 s21, 0xbfef7484
	v_add_f64 v[181:182], v[132:133], v[112:113]
	v_add_f64 v[52:53], v[106:107], -v[142:143]
	v_add_f64 v[195:196], v[132:133], -v[112:113]
	v_mul_f64 v[8:9], v[48:49], s[10:11]
	v_add_f64 v[191:192], v[106:107], v[142:143]
	v_mul_f64 v[18:19], v[235:236], s[18:19]
	s_mov_b32 s24, 0x923c349f
	s_mov_b32 s26, 0xc61f0d01
	;; [unrolled: 1-line block ×5, first 2 shown]
	v_mul_f64 v[22:23], v[50:51], s[28:29]
	s_mov_b32 s27, 0xbfd183b1
	v_mul_f64 v[26:27], v[183:184], s[20:21]
	v_add_f64 v[189:190], v[104:105], v[140:141]
	v_add_f64 v[199:200], v[104:105], -v[140:141]
	v_add_f64 v[58:59], v[154:155], -v[150:151]
	s_mov_b32 s38, 0x2a9d6da3
	v_fma_f64 v[0:1], v[201:202], s[2:3], -v[28:29]
	v_fma_f64 v[2:3], v[219:220], s[8:9], v[30:31]
	s_mov_b32 s39, 0x3fe58eea
	v_add_f64 v[217:218], v[152:153], v[148:149]
	v_add_f64 v[227:228], v[154:155], v[150:151]
	v_mul_f64 v[20:21], v[52:53], s[22:23]
	s_mov_b32 s34, 0x75d4884
	v_fma_f64 v[4:5], v[177:178], s[18:19], -v[8:9]
	v_mul_f64 v[24:25], v[191:192], s[26:27]
	v_fma_f64 v[6:7], v[185:186], s[10:11], v[18:19]
	s_mov_b32 s35, 0x3fe7a5f6
	v_add_f64 v[231:232], v[152:153], -v[148:149]
	v_add_f64 v[66:67], v[146:147], -v[126:127]
	s_mov_b32 s46, 0x5d8e7cdc
	s_mov_b32 s47, 0xbfd71e95
	v_fma_f64 v[156:157], v[181:182], s[20:21], -v[22:23]
	v_add_f64 v[223:224], v[144:145], v[124:125]
	v_add_f64 v[239:240], v[146:147], v[126:127]
	s_mov_b32 s30, 0x370991
	s_mov_b32 s31, 0x3fedd6d0
	v_mul_f64 v[38:39], v[58:59], s[38:39]
	v_add_f64 v[243:244], v[144:145], -v[124:125]
	v_add_f64 v[0:1], v[96:97], v[0:1]
	v_add_f64 v[2:3], v[98:99], v[2:3]
	v_add_f64 v[74:75], v[122:123], -v[138:139]
	s_mov_b32 s44, 0xeb564b22
	v_mul_f64 v[40:41], v[227:228], s[34:35]
	s_mov_b32 s45, 0xbfefdd0d
	v_add_f64 v[233:234], v[120:121], v[136:137]
	v_add_f64 v[247:248], v[122:123], v[138:139]
	s_mov_b32 s36, 0x3259b75e
	s_mov_b32 s37, 0x3fb79ee6
	v_add_f64 v[251:252], v[120:121], -v[136:137]
	v_add_f64 v[79:80], v[118:119], -v[110:111]
	v_mul_f64 v[32:33], v[66:67], s[46:47]
	s_mov_b32 s50, 0x4363dd80
	s_mov_b32 s51, 0x3fe0d888
	;; [unrolled: 1-line block ×4, first 2 shown]
	v_mul_f64 v[54:55], v[239:240], s[30:31]
	v_add_f64 v[237:238], v[116:117], v[108:109]
	v_add_f64 v[249:250], v[118:119], v[110:111]
	s_mov_b32 s40, 0x910ea3b9
	s_mov_b32 s41, 0xbfeb34fa
	v_add_f64 v[0:1], v[4:5], v[0:1]
	v_add_f64 v[2:3], v[6:7], v[2:3]
	v_fma_f64 v[4:5], v[195:196], s[28:29], v[26:27]
	v_fma_f64 v[6:7], v[189:190], s[26:27], -v[20:21]
	v_mul_f64 v[44:45], v[74:75], s[44:45]
	v_add_f64 v[197:198], v[116:117], -v[108:109]
	v_mul_f64 v[81:82], v[48:49], s[16:17]
	v_mul_f64 v[56:57], v[247:248], s[36:37]
	;; [unrolled: 1-line block ×6, first 2 shown]
	s_mov_b32 s49, 0x3fd71e95
	s_mov_b32 s48, s46
	v_mul_f64 v[172:173], v[191:192], s[30:31]
	v_mul_f64 v[84:85], v[52:53], s[48:49]
	;; [unrolled: 1-line block ×7, first 2 shown]
	s_mov_b32 s53, 0x3fe9895b
	v_add_f64 v[0:1], v[156:157], v[0:1]
	s_mov_b32 s52, s10
	v_add_f64 v[2:3], v[4:5], v[2:3]
	v_fma_f64 v[4:5], v[199:200], s[22:23], v[24:25]
	v_mul_f64 v[60:61], v[74:75], s[52:53]
	v_mul_f64 v[77:78], v[247:248], s[18:19]
	;; [unrolled: 1-line block ×7, first 2 shown]
	s_mov_b32 s59, 0x3fefdd0d
	s_mov_b32 s58, s44
	v_mul_f64 v[187:188], v[74:75], s[46:47]
	v_mul_f64 v[225:226], v[66:67], s[58:59]
	;; [unrolled: 1-line block ×6, first 2 shown]
	s_mov_b32 s57, 0xbfe58eea
	s_mov_b32 s56, s38
	v_mul_f64 v[209:210], v[247:248], s[20:21]
	v_add_f64 v[0:1], v[6:7], v[0:1]
	v_mul_f64 v[6:7], v[235:236], s[40:41]
	s_mov_b32 s55, 0x3feca52d
	v_add_f64 v[2:3], v[4:5], v[2:3]
	v_fma_f64 v[4:5], v[217:218], s[34:35], -v[38:39]
	s_mov_b32 s54, s8
	v_add_f64 v[0:1], v[4:5], v[0:1]
	v_fma_f64 v[4:5], v[231:232], s[38:39], v[40:41]
	v_add_f64 v[2:3], v[4:5], v[2:3]
	v_fma_f64 v[4:5], v[223:224], s[30:31], -v[32:33]
	v_add_f64 v[0:1], v[4:5], v[0:1]
	v_fma_f64 v[4:5], v[243:244], s[46:47], v[54:55]
	v_add_f64 v[2:3], v[4:5], v[2:3]
	v_fma_f64 v[4:5], v[233:234], s[36:37], -v[44:45]
	;; [unrolled: 4-line block ×3, first 2 shown]
	v_add_f64 v[156:157], v[4:5], v[0:1]
	v_fma_f64 v[0:1], v[197:198], s[42:43], v[46:47]
	v_fma_f64 v[4:5], v[185:186], s[16:17], v[88:89]
	v_add_f64 v[158:159], v[0:1], v[2:3]
	v_mul_f64 v[0:1], v[205:206], s[44:45]
	v_fma_f64 v[2:3], v[177:178], s[20:21], -v[81:82]
	buffer_store_dword v0, off, s[60:63], 0 offset:420 ; 4-byte Folded Spill
	buffer_store_dword v1, off, s[60:63], 0 offset:424 ; 4-byte Folded Spill
	v_fma_f64 v[0:1], v[201:202], s[36:37], -v[0:1]
	v_add_f64 v[0:1], v[96:97], v[0:1]
	v_add_f64 v[0:1], v[2:3], v[0:1]
	v_mul_f64 v[2:3], v[207:208], s[36:37]
	buffer_store_dword v2, off, s[60:63], 0 offset:436 ; 4-byte Folded Spill
	buffer_store_dword v3, off, s[60:63], 0 offset:440 ; 4-byte Folded Spill
	;; [unrolled: 1-line block ×4, first 2 shown]
	v_fma_f64 v[2:3], v[219:220], s[44:45], v[2:3]
	v_fma_f64 v[6:7], v[185:186], s[50:51], v[6:7]
	v_add_f64 v[2:3], v[98:99], v[2:3]
	v_add_f64 v[2:3], v[4:5], v[2:3]
	v_fma_f64 v[4:5], v[181:182], s[26:27], -v[86:87]
	v_add_f64 v[0:1], v[4:5], v[0:1]
	v_fma_f64 v[4:5], v[195:196], s[22:23], v[90:91]
	v_add_f64 v[2:3], v[4:5], v[2:3]
	v_fma_f64 v[4:5], v[189:190], s[30:31], -v[84:85]
	v_add_f64 v[0:1], v[4:5], v[0:1]
	v_fma_f64 v[4:5], v[199:200], s[48:49], v[172:173]
	v_add_f64 v[2:3], v[4:5], v[2:3]
	v_fma_f64 v[4:5], v[217:218], s[2:3], -v[64:65]
	v_add_f64 v[0:1], v[4:5], v[0:1]
	v_fma_f64 v[4:5], v[231:232], s[8:9], v[179:180]
	v_add_f64 v[2:3], v[4:5], v[2:3]
	v_fma_f64 v[4:5], v[223:224], s[40:41], -v[62:63]
	v_add_f64 v[0:1], v[4:5], v[0:1]
	v_fma_f64 v[4:5], v[243:244], s[42:43], v[70:71]
	v_add_f64 v[2:3], v[4:5], v[2:3]
	v_fma_f64 v[4:5], v[233:234], s[18:19], -v[60:61]
	v_add_f64 v[0:1], v[4:5], v[0:1]
	v_fma_f64 v[4:5], v[251:252], s[52:53], v[77:78]
	v_add_f64 v[2:3], v[4:5], v[2:3]
	v_fma_f64 v[4:5], v[237:238], s[34:35], -v[72:73]
	v_add_f64 v[160:161], v[4:5], v[0:1]
	v_fma_f64 v[0:1], v[197:198], s[38:39], v[68:69]
	v_mul_f64 v[4:5], v[207:208], s[26:27]
	v_add_f64 v[162:163], v[0:1], v[2:3]
	v_fma_f64 v[0:1], v[201:202], s[26:27], -v[253:254]
	v_fma_f64 v[2:3], v[177:178], s[40:41], -v[174:175]
	v_add_f64 v[0:1], v[96:97], v[0:1]
	v_add_f64 v[0:1], v[2:3], v[0:1]
	v_fma_f64 v[2:3], v[219:220], s[24:25], v[4:5]
	v_add_f64 v[2:3], v[98:99], v[2:3]
	v_add_f64 v[2:3], v[6:7], v[2:3]
	v_mul_f64 v[6:7], v[50:51], s[38:39]
	buffer_store_dword v6, off, s[60:63], 0 offset:20 ; 4-byte Folded Spill
	buffer_store_dword v7, off, s[60:63], 0 offset:24 ; 4-byte Folded Spill
	v_fma_f64 v[6:7], v[181:182], s[34:35], -v[6:7]
	v_add_f64 v[0:1], v[6:7], v[0:1]
	v_mul_f64 v[6:7], v[183:184], s[34:35]
	buffer_store_dword v6, off, s[60:63], 0 offset:380 ; 4-byte Folded Spill
	buffer_store_dword v7, off, s[60:63], 0 offset:384 ; 4-byte Folded Spill
	v_fma_f64 v[6:7], v[195:196], s[38:39], v[6:7]
	v_add_f64 v[2:3], v[6:7], v[2:3]
	v_mul_f64 v[6:7], v[52:53], s[8:9]
	buffer_store_dword v6, off, s[60:63], 0 offset:36 ; 4-byte Folded Spill
	buffer_store_dword v7, off, s[60:63], 0 offset:40 ; 4-byte Folded Spill
	v_fma_f64 v[6:7], v[189:190], s[2:3], -v[6:7]
	v_add_f64 v[0:1], v[6:7], v[0:1]
	v_mul_f64 v[6:7], v[191:192], s[2:3]
	buffer_store_dword v6, off, s[60:63], 0 offset:388 ; 4-byte Folded Spill
	buffer_store_dword v7, off, s[60:63], 0 offset:392 ; 4-byte Folded Spill
	v_fma_f64 v[6:7], v[199:200], s[8:9], v[6:7]
	v_add_f64 v[2:3], v[6:7], v[2:3]
	v_fma_f64 v[6:7], v[217:218], s[20:21], -v[245:246]
	v_add_f64 v[0:1], v[6:7], v[0:1]
	v_mul_f64 v[6:7], v[227:228], s[20:21]
	buffer_store_dword v6, off, s[60:63], 0 offset:396 ; 4-byte Folded Spill
	buffer_store_dword v7, off, s[60:63], 0 offset:400 ; 4-byte Folded Spill
	v_fma_f64 v[6:7], v[231:232], s[16:17], v[6:7]
	v_add_f64 v[2:3], v[6:7], v[2:3]
	;; [unrolled: 7-line block ×4, first 2 shown]
	v_fma_f64 v[6:7], v[237:238], s[18:19], -v[215:216]
	v_add_f64 v[164:165], v[6:7], v[0:1]
	v_fma_f64 v[0:1], v[197:198], s[10:11], v[229:230]
	v_mul_f64 v[6:7], v[205:206], s[10:11]
	v_add_f64 v[166:167], v[0:1], v[2:3]
	v_mul_f64 v[2:3], v[48:49], s[22:23]
	buffer_store_dword v2, off, s[60:63], 0 offset:452 ; 4-byte Folded Spill
	buffer_store_dword v3, off, s[60:63], 0 offset:456 ; 4-byte Folded Spill
	;; [unrolled: 1-line block ×4, first 2 shown]
	v_fma_f64 v[0:1], v[201:202], s[18:19], -v[6:7]
	v_add_f64 v[0:1], v[96:97], v[0:1]
	v_fma_f64 v[2:3], v[177:178], s[26:27], -v[2:3]
	v_fma_f64 v[168:169], v[185:186], s[22:23], v[168:169]
	v_add_f64 v[0:1], v[2:3], v[0:1]
	v_fma_f64 v[2:3], v[219:220], s[10:11], v[193:194]
	v_add_f64 v[2:3], v[98:99], v[2:3]
	v_add_f64 v[2:3], v[168:169], v[2:3]
	v_mul_f64 v[168:169], v[50:51], s[46:47]
	buffer_store_dword v168, off, s[60:63], 0 offset:468 ; 4-byte Folded Spill
	buffer_store_dword v169, off, s[60:63], 0 offset:472 ; 4-byte Folded Spill
	v_fma_f64 v[168:169], v[181:182], s[30:31], -v[168:169]
	v_add_f64 v[0:1], v[168:169], v[0:1]
	v_mul_f64 v[168:169], v[183:184], s[30:31]
	buffer_store_dword v168, off, s[60:63], 0 offset:500 ; 4-byte Folded Spill
	buffer_store_dword v169, off, s[60:63], 0 offset:504 ; 4-byte Folded Spill
	v_fma_f64 v[168:169], v[195:196], s[46:47], v[168:169]
	v_add_f64 v[2:3], v[168:169], v[2:3]
	v_mul_f64 v[168:169], v[52:53], s[42:43]
	buffer_store_dword v168, off, s[60:63], 0 offset:484 ; 4-byte Folded Spill
	buffer_store_dword v169, off, s[60:63], 0 offset:488 ; 4-byte Folded Spill
	v_fma_f64 v[168:169], v[189:190], s[40:41], -v[168:169]
	v_add_f64 v[168:169], v[168:169], v[0:1]
	v_mul_f64 v[0:1], v[191:192], s[40:41]
	buffer_store_dword v0, off, s[60:63], 0 offset:516 ; 4-byte Folded Spill
	buffer_store_dword v1, off, s[60:63], 0 offset:520 ; 4-byte Folded Spill
	v_fma_f64 v[170:171], v[199:200], s[42:43], v[0:1]
	v_mul_f64 v[0:1], v[58:59], s[58:59]
	buffer_store_dword v0, off, s[60:63], 0 offset:492 ; 4-byte Folded Spill
	buffer_store_dword v1, off, s[60:63], 0 offset:496 ; 4-byte Folded Spill
	v_add_f64 v[2:3], v[170:171], v[2:3]
	v_fma_f64 v[170:171], v[217:218], s[36:37], -v[0:1]
	v_mul_f64 v[0:1], v[227:228], s[36:37]
	buffer_store_dword v0, off, s[60:63], 0 offset:524 ; 4-byte Folded Spill
	buffer_store_dword v1, off, s[60:63], 0 offset:528 ; 4-byte Folded Spill
	v_add_f64 v[168:169], v[170:171], v[168:169]
	v_fma_f64 v[170:171], v[231:232], s[58:59], v[0:1]
	v_mul_f64 v[0:1], v[66:67], s[56:57]
	buffer_store_dword v0, off, s[60:63], 0 offset:508 ; 4-byte Folded Spill
	buffer_store_dword v1, off, s[60:63], 0 offset:512 ; 4-byte Folded Spill
	;; [unrolled: 1-line block ×4, first 2 shown]
	v_add_f64 v[170:171], v[170:171], v[2:3]
	s_waitcnt_vscnt null, 0x0
	s_barrier
	buffer_gl0_inv
	v_fma_f64 v[2:3], v[223:224], s[34:35], -v[0:1]
	v_mul_f64 v[0:1], v[74:75], s[16:17]
	v_add_f64 v[168:169], v[2:3], v[168:169]
	v_mul_f64 v[2:3], v[239:240], s[34:35]
	v_fma_f64 v[221:222], v[243:244], s[56:57], v[2:3]
	v_add_f64 v[170:171], v[221:222], v[170:171]
	v_fma_f64 v[221:222], v[233:234], s[20:21], -v[0:1]
	v_add_f64 v[168:169], v[221:222], v[168:169]
	v_fma_f64 v[221:222], v[251:252], s[16:17], v[209:210]
	v_add_f64 v[170:171], v[221:222], v[170:171]
	v_mul_f64 v[221:222], v[79:80], s[54:55]
	v_fma_f64 v[241:242], v[237:238], s[2:3], -v[221:222]
	v_add_f64 v[211:212], v[241:242], v[168:169]
	v_mul_f64 v[168:169], v[249:250], s[2:3]
	v_fma_f64 v[209:210], v[197:198], s[54:55], v[168:169]
	v_add_f64 v[213:214], v[209:210], v[170:171]
	s_and_saveexec_b32 s1, vcc_lo
	s_cbranch_execz .LBB0_17
; %bb.16:
	v_mov_b32_e32 v171, v169
	v_mov_b32_e32 v170, v168
	;; [unrolled: 1-line block ×4, first 2 shown]
	s_clause 0x1
	buffer_load_dword v2, off, s[60:63], 0 offset:436
	buffer_load_dword v3, off, s[60:63], 0 offset:440
	v_add_f64 v[100:101], v[96:97], v[100:101]
	v_add_f64 v[102:103], v[98:99], v[102:103]
	;; [unrolled: 1-line block ×8, first 2 shown]
	v_mul_f64 v[106:107], v[201:202], s[18:19]
	v_mul_f64 v[104:105], v[219:220], s[10:11]
	v_add_f64 v[100:101], v[100:101], v[152:153]
	v_add_f64 v[102:103], v[102:103], v[154:155]
	;; [unrolled: 1-line block ×3, first 2 shown]
	v_mul_f64 v[106:107], v[219:220], s[24:25]
	v_add_f64 v[104:105], v[193:194], -v[104:105]
	v_add_f64 v[100:101], v[100:101], v[144:145]
	v_add_f64 v[102:103], v[102:103], v[146:147]
	v_mul_f64 v[146:147], v[205:206], s[46:47]
	v_mul_f64 v[144:145], v[205:206], s[56:57]
	v_add_f64 v[4:5], v[4:5], -v[106:107]
	v_mul_f64 v[106:107], v[201:202], s[26:27]
	v_add_f64 v[193:194], v[96:97], v[6:7]
	v_add_f64 v[104:105], v[98:99], v[104:105]
	;; [unrolled: 1-line block ×4, first 2 shown]
	v_fma_f64 v[154:155], v[201:202], s[30:31], v[146:147]
	v_fma_f64 v[152:153], v[201:202], s[34:35], v[144:145]
	v_fma_f64 v[144:145], v[201:202], s[34:35], -v[144:145]
	v_mul_f64 v[120:121], v[219:220], s[16:17]
	v_add_f64 v[106:107], v[106:107], v[253:254]
	v_fma_f64 v[146:147], v[201:202], s[30:31], -v[146:147]
	v_mul_f64 v[122:123], v[219:220], s[42:43]
	v_add_f64 v[100:101], v[100:101], v[116:117]
	v_add_f64 v[102:103], v[102:103], v[118:119]
	v_mul_f64 v[118:119], v[201:202], s[2:3]
	v_mul_f64 v[116:117], v[219:220], s[8:9]
	v_fma_f64 v[128:129], v[207:208], s[20:21], v[120:121]
	v_add_f64 v[106:107], v[96:97], v[106:107]
	v_fma_f64 v[120:121], v[207:208], s[20:21], -v[120:121]
	v_fma_f64 v[130:131], v[207:208], s[40:41], -v[122:123]
	v_fma_f64 v[122:123], v[207:208], s[40:41], v[122:123]
	v_add_f64 v[100:101], v[100:101], v[108:109]
	v_mul_f64 v[108:109], v[219:220], s[44:45]
	v_add_f64 v[102:103], v[102:103], v[110:111]
	v_mul_f64 v[110:111], v[201:202], s[36:37]
	v_add_f64 v[118:119], v[118:119], v[28:29]
	v_add_f64 v[128:129], v[98:99], v[128:129]
	v_add_f64 v[116:117], v[30:31], -v[116:117]
	v_add_f64 v[120:121], v[98:99], v[120:121]
	v_add_f64 v[130:131], v[98:99], v[130:131]
	;; [unrolled: 1-line block ×3, first 2 shown]
	v_mul_f64 v[28:29], v[79:80], s[58:59]
	v_mul_f64 v[30:31], v[217:218], s[36:37]
	v_add_f64 v[100:101], v[100:101], v[136:137]
	v_mul_f64 v[136:137], v[205:206], s[16:17]
	v_add_f64 v[102:103], v[102:103], v[138:139]
	;; [unrolled: 2-line block ×3, first 2 shown]
	v_add_f64 v[100:101], v[100:101], v[124:125]
	v_mul_f64 v[124:125], v[219:220], s[56:57]
	v_add_f64 v[102:103], v[102:103], v[126:127]
	v_mul_f64 v[126:127], v[219:220], s[46:47]
	v_add_f64 v[100:101], v[100:101], v[148:149]
	v_fma_f64 v[132:133], v[207:208], s[34:35], -v[124:125]
	v_fma_f64 v[124:125], v[207:208], s[34:35], v[124:125]
	v_fma_f64 v[134:135], v[207:208], s[30:31], -v[126:127]
	v_fma_f64 v[126:127], v[207:208], s[30:31], v[126:127]
	v_add_f64 v[102:103], v[102:103], v[150:151]
	v_fma_f64 v[148:149], v[201:202], s[20:21], -v[136:137]
	v_fma_f64 v[136:137], v[201:202], s[20:21], v[136:137]
	v_fma_f64 v[150:151], v[201:202], s[40:41], v[138:139]
	v_fma_f64 v[138:139], v[201:202], s[40:41], -v[138:139]
	v_add_f64 v[201:202], v[98:99], v[4:5]
	v_add_f64 v[6:7], v[100:101], v[140:141]
	v_mul_f64 v[100:101], v[185:186], s[48:49]
	v_add_f64 v[4:5], v[102:103], v[142:143]
	v_add_f64 v[148:149], v[96:97], v[148:149]
	;; [unrolled: 1-line block ×5, first 2 shown]
	v_mul_f64 v[102:103], v[48:49], s[48:49]
	v_add_f64 v[112:113], v[6:7], v[112:113]
	s_waitcnt vmcnt(0)
	v_add_f64 v[108:109], v[2:3], -v[108:109]
	s_clause 0x1
	buffer_load_dword v2, off, s[60:63], 0 offset:420
	buffer_load_dword v3, off, s[60:63], 0 offset:424
	v_add_f64 v[108:109], v[98:99], v[108:109]
	s_waitcnt vmcnt(0)
	v_add_f64 v[110:111], v[110:111], v[2:3]
	v_add_f64 v[2:3], v[96:97], v[118:119]
	v_mov_b32_e32 v118, v229
	v_mov_b32_e32 v119, v230
	buffer_store_dword v2, off, s[60:63], 0 offset:684 ; 4-byte Folded Spill
	buffer_store_dword v3, off, s[60:63], 0 offset:688 ; 4-byte Folded Spill
	v_add_f64 v[2:3], v[98:99], v[132:133]
	v_add_f64 v[110:111], v[96:97], v[110:111]
	v_mul_f64 v[132:133], v[197:198], s[24:25]
	buffer_store_dword v2, off, s[60:63], 0 offset:676 ; 4-byte Folded Spill
	buffer_store_dword v3, off, s[60:63], 0 offset:680 ; 4-byte Folded Spill
	v_add_f64 v[2:3], v[98:99], v[134:135]
	v_mov_b32_e32 v135, v89
	v_mov_b32_e32 v134, v88
	;; [unrolled: 1-line block ×4, first 2 shown]
	buffer_store_dword v2, off, s[60:63], 0 offset:652 ; 4-byte Folded Spill
	buffer_store_dword v3, off, s[60:63], 0 offset:656 ; 4-byte Folded Spill
	v_add_f64 v[2:3], v[96:97], v[154:155]
	v_mul_f64 v[154:155], v[181:182], s[26:27]
	buffer_store_dword v2, off, s[60:63], 0 offset:660 ; 4-byte Folded Spill
	buffer_store_dword v3, off, s[60:63], 0 offset:664 ; 4-byte Folded Spill
	v_add_f64 v[2:3], v[96:97], v[152:153]
	v_mov_b32_e32 v152, v174
	v_mov_b32_e32 v153, v175
	v_mov_b32_e32 v176, v75
	v_mov_b32_e32 v175, v74
	v_mov_b32_e32 v174, v76
	buffer_store_dword v2, off, s[60:63], 0 offset:644 ; 4-byte Folded Spill
	buffer_store_dword v3, off, s[60:63], 0 offset:648 ; 4-byte Folded Spill
	v_add_f64 v[2:3], v[98:99], v[124:125]
	v_mov_b32_e32 v125, v91
	v_mov_b32_e32 v124, v90
	;; [unrolled: 1-line block ×4, first 2 shown]
	v_mul_f64 v[44:45], v[231:232], s[16:17]
	buffer_store_dword v2, off, s[60:63], 0 offset:628 ; 4-byte Folded Spill
	buffer_store_dword v3, off, s[60:63], 0 offset:632 ; 4-byte Folded Spill
	v_add_f64 v[2:3], v[96:97], v[144:145]
	v_mov_b32_e32 v144, v172
	v_mov_b32_e32 v145, v173
	;; [unrolled: 1-line block ×6, first 2 shown]
	v_mul_f64 v[22:23], v[237:238], s[2:3]
	buffer_store_dword v2, off, s[60:63], 0 offset:636 ; 4-byte Folded Spill
	buffer_store_dword v3, off, s[60:63], 0 offset:640 ; 4-byte Folded Spill
	v_add_f64 v[2:3], v[98:99], v[126:127]
	v_fma_f64 v[98:99], v[177:178], s[30:31], -v[102:103]
	v_mov_b32_e32 v126, v179
	v_mov_b32_e32 v127, v180
	;; [unrolled: 1-line block ×4, first 2 shown]
	v_fma_f64 v[102:103], v[177:178], s[30:31], v[102:103]
	buffer_store_dword v2, off, s[60:63], 0 offset:604 ; 4-byte Folded Spill
	buffer_store_dword v3, off, s[60:63], 0 offset:608 ; 4-byte Folded Spill
	v_add_f64 v[2:3], v[96:97], v[146:147]
	v_fma_f64 v[96:97], v[235:236], s[30:31], v[100:101]
	v_add_f64 v[98:99], v[98:99], v[148:149]
	v_mul_f64 v[146:147], v[177:178], s[40:41]
	v_fma_f64 v[100:101], v[235:236], s[30:31], -v[100:101]
	v_add_f64 v[102:103], v[102:103], v[136:137]
	buffer_store_dword v2, off, s[60:63], 0 offset:596 ; 4-byte Folded Spill
	buffer_store_dword v3, off, s[60:63], 0 offset:600 ; 4-byte Folded Spill
	v_add_f64 v[96:97], v[96:97], v[128:129]
	v_mul_f64 v[128:129], v[195:196], s[42:43]
	v_mul_f64 v[2:3], v[197:198], s[58:59]
	buffer_store_dword v211, off, s[60:63], 0 offset:540 ; 4-byte Folded Spill
	buffer_store_dword v212, off, s[60:63], 0 offset:544 ; 4-byte Folded Spill
	;; [unrolled: 1-line block ×6, first 2 shown]
	v_mov_b32_e32 v214, v55
	v_mov_b32_e32 v213, v54
	v_add_f64 v[146:147], v[146:147], v[152:153]
	v_mul_f64 v[152:153], v[185:186], s[10:11]
	v_add_f64 v[100:101], v[100:101], v[120:121]
	buffer_store_dword v2, off, s[60:63], 0 offset:580 ; 4-byte Folded Spill
	buffer_store_dword v3, off, s[60:63], 0 offset:584 ; 4-byte Folded Spill
	v_fma_f64 v[140:141], v[183:184], s[40:41], v[128:129]
	buffer_store_dword v28, off, s[60:63], 0 offset:572 ; 4-byte Folded Spill
	buffer_store_dword v29, off, s[60:63], 0 offset:576 ; 4-byte Folded Spill
	v_add_f64 v[96:97], v[140:141], v[96:97]
	v_mul_f64 v[140:141], v[50:51], s[42:43]
	v_fma_f64 v[142:143], v[181:182], s[40:41], -v[140:141]
	v_add_f64 v[98:99], v[142:143], v[98:99]
	v_mul_f64 v[142:143], v[199:200], s[38:39]
	v_fma_f64 v[148:149], v[191:192], s[34:35], v[142:143]
	v_add_f64 v[96:97], v[148:149], v[96:97]
	v_mul_f64 v[148:149], v[52:53], s[38:39]
	v_fma_f64 v[205:206], v[189:190], s[34:35], -v[148:149]
	v_add_f64 v[98:99], v[205:206], v[98:99]
	v_mul_f64 v[205:206], v[231:232], s[10:11]
	v_fma_f64 v[207:208], v[227:228], s[18:19], v[205:206]
	;; [unrolled: 6-line block ×4, first 2 shown]
	v_add_f64 v[96:97], v[211:212], v[96:97]
	v_mul_f64 v[211:212], v[74:75], s[24:25]
	v_fma_f64 v[0:1], v[233:234], s[26:27], -v[211:212]
	v_add_f64 v[0:1], v[0:1], v[98:99]
	v_fma_f64 v[98:99], v[249:250], s[36:37], v[2:3]
	v_add_f64 v[2:3], v[98:99], v[96:97]
	v_fma_f64 v[96:97], v[237:238], s[36:37], -v[28:29]
	v_mov_b32_e32 v28, v221
	v_mov_b32_e32 v29, v222
	;; [unrolled: 1-line block ×6, first 2 shown]
	v_add_f64 v[0:1], v[96:97], v[0:1]
	v_mov_b32_e32 v96, v187
	v_mov_b32_e32 v97, v188
	buffer_store_dword v0, off, s[60:63], 0 offset:556 ; 4-byte Folded Spill
	buffer_store_dword v1, off, s[60:63], 0 offset:560 ; 4-byte Folded Spill
	buffer_store_dword v2, off, s[60:63], 0 offset:564 ; 4-byte Folded Spill
	buffer_store_dword v3, off, s[60:63], 0 offset:568 ; 4-byte Folded Spill
	v_add_f64 v[0:1], v[4:5], v[114:115]
	v_mul_f64 v[114:115], v[185:186], s[54:55]
	v_mov_b32_e32 v188, v51
	v_mov_b32_e32 v187, v50
	;; [unrolled: 1-line block ×4, first 2 shown]
	buffer_store_dword v156, off, s[60:63], 0 offset:420 ; 4-byte Folded Spill
	buffer_store_dword v157, off, s[60:63], 0 offset:424 ; 4-byte Folded Spill
	;; [unrolled: 1-line block ×4, first 2 shown]
	v_mov_b32_e32 v157, v59
	v_mov_b32_e32 v156, v58
	;; [unrolled: 1-line block ×4, first 2 shown]
	v_add_f64 v[0:1], v[0:1], v[16:17]
	v_fma_f64 v[4:5], v[235:236], s[2:3], -v[114:115]
	v_mul_f64 v[16:17], v[199:200], s[42:43]
	v_fma_f64 v[114:115], v[235:236], s[2:3], v[114:115]
	v_add_f64 v[4:5], v[4:5], v[130:131]
	v_mul_f64 v[130:131], v[48:49], s[54:55]
	v_add_f64 v[114:115], v[114:115], v[122:123]
	v_fma_f64 v[6:7], v[177:178], s[2:3], v[130:131]
	v_fma_f64 v[120:121], v[177:178], s[2:3], -v[130:131]
	v_add_f64 v[6:7], v[6:7], v[150:151]
	v_mul_f64 v[150:151], v[195:196], s[44:45]
	v_add_f64 v[120:121], v[120:121], v[138:139]
	v_fma_f64 v[221:222], v[183:184], s[36:37], -v[150:151]
	v_add_f64 v[4:5], v[221:222], v[4:5]
	v_mul_f64 v[221:222], v[50:51], s[44:45]
	v_fma_f64 v[229:230], v[181:182], s[36:37], v[221:222]
	v_add_f64 v[6:7], v[229:230], v[6:7]
	v_mul_f64 v[229:230], v[199:200], s[52:53]
	v_fma_f64 v[241:242], v[191:192], s[18:19], -v[229:230]
	v_add_f64 v[4:5], v[241:242], v[4:5]
	v_mul_f64 v[241:242], v[52:53], s[52:53]
	v_fma_f64 v[48:49], v[189:190], s[18:19], v[241:242]
	v_add_f64 v[6:7], v[48:49], v[6:7]
	v_mul_f64 v[48:49], v[231:232], s[46:47]
	;; [unrolled: 6-line block ×4, first 2 shown]
	v_fma_f64 v[58:59], v[247:248], s[34:35], -v[56:57]
	v_add_f64 v[4:5], v[58:59], v[4:5]
	v_mul_f64 v[58:59], v[74:75], s[38:39]
	v_mov_b32_e32 v75, v21
	v_mov_b32_e32 v74, v20
	v_mul_f64 v[20:21], v[185:186], s[22:23]
	v_fma_f64 v[60:61], v[233:234], s[34:35], v[58:59]
	v_add_f64 v[60:61], v[60:61], v[6:7]
	v_fma_f64 v[6:7], v[249:250], s[26:27], -v[132:133]
	v_add_f64 v[6:7], v[6:7], v[4:5]
	v_mul_f64 v[4:5], v[79:80], s[24:25]
	buffer_store_dword v4, off, s[60:63], 0 offset:588 ; 4-byte Folded Spill
	buffer_store_dword v5, off, s[60:63], 0 offset:592 ; 4-byte Folded Spill
	;; [unrolled: 1-line block ×4, first 2 shown]
	v_add_f64 v[0:1], v[112:113], v[14:15]
	buffer_store_dword v0, off, s[60:63], 0 offset:620 ; 4-byte Folded Spill
	buffer_store_dword v1, off, s[60:63], 0 offset:624 ; 4-byte Folded Spill
	v_mul_f64 v[112:113], v[251:252], s[16:17]
	v_mul_f64 v[14:15], v[231:232], s[58:59]
	v_fma_f64 v[4:5], v[237:238], s[26:27], v[4:5]
	v_add_f64 v[4:5], v[4:5], v[60:61]
	v_mul_f64 v[60:61], v[197:198], s[54:55]
	v_add_f64 v[0:1], v[170:171], -v[60:61]
	buffer_store_dword v0, off, s[60:63], 0 offset:668 ; 4-byte Folded Spill
	buffer_store_dword v1, off, s[60:63], 0 offset:672 ; 4-byte Folded Spill
	s_clause 0x1
	buffer_load_dword v0, off, s[60:63], 0 offset:532
	buffer_load_dword v1, off, s[60:63], 0 offset:536
	buffer_store_dword v160, off, s[60:63], 0 offset:436 ; 4-byte Folded Spill
	buffer_store_dword v161, off, s[60:63], 0 offset:440 ; 4-byte Folded Spill
	;; [unrolled: 1-line block ×4, first 2 shown]
	v_mov_b32_e32 v61, v19
	v_mov_b32_e32 v60, v18
	v_mul_f64 v[18:19], v[195:196], s[46:47]
	v_mov_b32_e32 v161, v67
	v_mov_b32_e32 v160, v66
	;; [unrolled: 1-line block ×6, first 2 shown]
	v_mul_f64 v[12:13], v[243:244], s[56:57]
	v_mov_b32_e32 v163, v85
	v_mov_b32_e32 v162, v84
	v_mov_b32_e32 v85, v39
	v_mov_b32_e32 v84, v38
	v_mul_f64 v[38:39], v[195:196], s[38:39]
	v_mov_b32_e32 v171, v87
	v_mov_b32_e32 v170, v86
	;; [unrolled: 1-line block ×4, first 2 shown]
	v_mul_f64 v[40:41], v[185:186], s[50:51]
	v_add_f64 v[152:153], v[60:61], -v[152:153]
	v_add_f64 v[154:155], v[154:155], v[170:171]
	v_mul_f64 v[60:61], v[217:218], s[20:21]
	v_add_f64 v[12:13], v[168:169], -v[12:13]
	v_mov_b32_e32 v169, v80
	v_mov_b32_e32 v168, v79
	;; [unrolled: 1-line block ×4, first 2 shown]
	v_mul_f64 v[24:25], v[189:190], s[40:41]
	v_add_f64 v[60:61], v[60:61], v[245:246]
	s_waitcnt vmcnt(0)
	v_add_f64 v[112:113], v[0:1], -v[112:113]
	s_clause 0x1
	buffer_load_dword v0, off, s[60:63], 0 offset:524
	buffer_load_dword v1, off, s[60:63], 0 offset:528
	s_waitcnt vmcnt(0)
	v_add_f64 v[14:15], v[0:1], -v[14:15]
	s_clause 0x1
	buffer_load_dword v0, off, s[60:63], 0 offset:516
	buffer_load_dword v1, off, s[60:63], 0 offset:520
	;; [unrolled: 5-line block ×4, first 2 shown]
	s_waitcnt vmcnt(0)
	v_add_f64 v[20:21], v[0:1], -v[20:21]
	v_add_f64 v[0:1], v[22:23], v[28:29]
	buffer_store_dword v0, off, s[60:63], 0 offset:476 ; 4-byte Folded Spill
	buffer_store_dword v1, off, s[60:63], 0 offset:480 ; 4-byte Folded Spill
	s_clause 0x1
	buffer_load_dword v0, off, s[60:63], 0 offset:484
	buffer_load_dword v1, off, s[60:63], 0 offset:488
	v_mov_b32_e32 v22, v81
	v_mov_b32_e32 v23, v82
	;; [unrolled: 1-line block ×4, first 2 shown]
	v_mul_f64 v[26:27], v[181:182], s[30:31]
	v_mul_f64 v[28:29], v[177:178], s[26:27]
	v_mov_b32_e32 v83, v33
	v_mov_b32_e32 v82, v32
	v_mul_f64 v[32:33], v[223:224], s[34:35]
	v_add_f64 v[20:21], v[20:21], v[104:105]
	v_add_f64 v[104:105], v[146:147], v[106:107]
	;; [unrolled: 1-line block ×6, first 2 shown]
	v_fma_f64 v[14:15], v[247:248], s[26:27], -v[253:254]
	v_add_f64 v[12:13], v[112:113], v[12:13]
	v_mul_f64 v[112:113], v[187:188], s[10:11]
	s_waitcnt vmcnt(0)
	v_add_f64 v[24:25], v[24:25], v[0:1]
	s_clause 0x1
	buffer_load_dword v0, off, s[60:63], 0 offset:468
	buffer_load_dword v1, off, s[60:63], 0 offset:472
	s_waitcnt vmcnt(0)
	v_add_f64 v[26:27], v[26:27], v[0:1]
	s_clause 0x1
	buffer_load_dword v0, off, s[60:63], 0 offset:452
	buffer_load_dword v1, off, s[60:63], 0 offset:456
	;; [unrolled: 5-line block ×3, first 2 shown]
	v_add_f64 v[28:29], v[28:29], v[193:194]
	v_add_f64 v[20:21], v[26:27], v[28:29]
	;; [unrolled: 1-line block ×3, first 2 shown]
	s_waitcnt vmcnt(0)
	v_add_f64 v[30:31], v[30:31], v[0:1]
	s_clause 0x1
	buffer_load_dword v0, off, s[60:63], 0 offset:508
	buffer_load_dword v1, off, s[60:63], 0 offset:512
	buffer_store_dword v164, off, s[60:63], 0 offset:452 ; 4-byte Folded Spill
	buffer_store_dword v165, off, s[60:63], 0 offset:456 ; 4-byte Folded Spill
	;; [unrolled: 1-line block ×4, first 2 shown]
	v_mov_b32_e32 v167, v37
	v_mov_b32_e32 v166, v36
	;; [unrolled: 1-line block ×4, first 2 shown]
	v_mul_f64 v[34:35], v[251:252], s[46:47]
	v_mul_f64 v[36:37], v[243:244], s[58:59]
	v_add_f64 v[16:17], v[30:31], v[18:19]
	v_fma_f64 v[30:31], v[239:240], s[20:21], v[52:53]
	v_mul_f64 v[52:53], v[223:224], s[30:31]
	v_add_f64 v[52:53], v[52:53], v[82:83]
	s_waitcnt vmcnt(0)
	v_add_f64 v[32:33], v[32:33], v[0:1]
	s_clause 0x1
	buffer_load_dword v0, off, s[60:63], 0 offset:412
	buffer_load_dword v1, off, s[60:63], 0 offset:416
	v_add_f64 v[16:17], v[32:33], v[16:17]
	v_mul_f64 v[32:33], v[223:224], s[40:41]
	v_add_f64 v[32:33], v[32:33], v[62:63]
	v_fma_f64 v[62:63], v[249:250], s[26:27], v[132:133]
	s_waitcnt vmcnt(0)
	v_add_f64 v[34:35], v[0:1], -v[34:35]
	s_clause 0x1
	buffer_load_dword v0, off, s[60:63], 0 offset:404
	buffer_load_dword v1, off, s[60:63], 0 offset:408
	s_waitcnt vmcnt(0)
	v_add_f64 v[36:37], v[0:1], -v[36:37]
	s_clause 0x1
	buffer_load_dword v0, off, s[60:63], 0 offset:380
	buffer_load_dword v1, off, s[60:63], 0 offset:384
	;; [unrolled: 5-line block ×3, first 2 shown]
	buffer_store_dword v42, off, s[60:63], 0 offset:372 ; 4-byte Folded Spill
	buffer_store_dword v43, off, s[60:63], 0 offset:376 ; 4-byte Folded Spill
	v_mul_f64 v[42:43], v[199:200], s[8:9]
	s_waitcnt vmcnt(0)
	v_add_f64 v[40:41], v[0:1], -v[40:41]
	s_clause 0x1
	buffer_load_dword v0, off, s[60:63], 0 offset:388
	buffer_load_dword v1, off, s[60:63], 0 offset:392
	v_add_f64 v[40:41], v[40:41], v[201:202]
	v_add_f64 v[26:27], v[38:39], v[40:41]
	v_fma_f64 v[40:41], v[191:192], s[34:35], -v[142:143]
	s_waitcnt vmcnt(0)
	v_add_f64 v[42:43], v[0:1], -v[42:43]
	s_clause 0x1
	buffer_load_dword v0, off, s[60:63], 0 offset:396
	buffer_load_dword v1, off, s[60:63], 0 offset:400
	buffer_store_dword v46, off, s[60:63], 0 offset:380 ; 4-byte Folded Spill
	buffer_store_dword v47, off, s[60:63], 0 offset:384 ; 4-byte Folded Spill
	v_mul_f64 v[46:47], v[181:182], s[34:35]
	v_add_f64 v[20:21], v[42:43], v[26:27]
	v_fma_f64 v[26:27], v[227:228], s[18:19], -v[205:206]
	v_fma_f64 v[42:43], v[217:218], s[30:31], -v[50:51]
	v_mul_f64 v[50:51], v[233:234], s[18:19]
	v_add_f64 v[50:51], v[50:51], v[158:159]
	s_waitcnt vmcnt(0)
	v_add_f64 v[44:45], v[0:1], -v[44:45]
	s_clause 0x3
	buffer_load_dword v0, off, s[60:63], 0 offset:20
	buffer_load_dword v1, off, s[60:63], 0 offset:24
	;; [unrolled: 1-line block ×4, first 2 shown]
	v_add_f64 v[18:19], v[44:45], v[20:21]
	v_fma_f64 v[20:21], v[239:240], s[2:3], -v[209:210]
	v_mul_f64 v[44:45], v[199:200], s[22:23]
	v_add_f64 v[18:19], v[36:37], v[18:19]
	v_mul_f64 v[36:37], v[181:182], s[20:21]
	v_add_f64 v[44:45], v[78:79], -v[44:45]
	v_add_f64 v[18:19], v[34:35], v[18:19]
	v_add_f64 v[36:37], v[36:37], v[76:77]
	v_mul_f64 v[34:35], v[243:244], s[46:47]
	v_mov_b32_e32 v76, v174
	v_add_f64 v[34:35], v[213:214], -v[34:35]
	s_waitcnt vmcnt(2)
	v_add_f64 v[46:47], v[46:47], v[0:1]
	v_mul_f64 v[0:1], v[189:190], s[2:3]
	v_add_f64 v[28:29], v[46:47], v[104:105]
	s_waitcnt vmcnt(0)
	v_add_f64 v[0:1], v[0:1], v[10:11]
	v_mul_f64 v[10:11], v[231:232], s[8:9]
	v_fma_f64 v[46:47], v[189:190], s[34:35], v[148:149]
	v_add_f64 v[0:1], v[0:1], v[28:29]
	v_add_f64 v[10:11], v[126:127], -v[10:11]
	v_mul_f64 v[126:127], v[195:196], s[22:23]
	v_mul_f64 v[28:29], v[243:244], s[42:43]
	v_add_f64 v[0:1], v[60:61], v[0:1]
	v_mul_f64 v[60:61], v[179:180], s[44:45]
	v_add_f64 v[126:127], v[124:125], -v[126:127]
	v_mul_f64 v[124:125], v[185:186], s[16:17]
	v_add_f64 v[28:29], v[70:71], -v[28:29]
	v_add_f64 v[124:125], v[134:135], -v[124:125]
	v_mul_f64 v[134:135], v[199:200], s[48:49]
	v_add_f64 v[106:107], v[124:125], v[108:109]
	v_add_f64 v[134:135], v[144:145], -v[134:135]
	v_mul_f64 v[144:145], v[177:178], s[20:21]
	v_add_f64 v[38:39], v[126:127], v[106:107]
	v_mul_f64 v[106:107], v[195:196], s[10:11]
	v_add_f64 v[144:145], v[144:145], v[22:23]
	;; [unrolled: 2-line block ×3, first 2 shown]
	v_fma_f64 v[38:39], v[217:218], s[18:19], v[207:208]
	v_add_f64 v[108:109], v[144:145], v[110:111]
	v_add_f64 v[110:111], v[152:153], v[116:117]
	v_fma_f64 v[116:117], v[183:184], s[40:41], -v[128:129]
	v_add_f64 v[22:23], v[80:81], -v[22:23]
	v_add_f64 v[10:11], v[10:11], v[24:25]
	v_mul_f64 v[24:25], v[223:224], s[36:37]
	v_add_f64 v[100:101], v[116:117], v[100:101]
	v_fma_f64 v[116:117], v[181:182], s[40:41], v[140:141]
	v_add_f64 v[22:23], v[22:23], v[110:111]
	v_add_f64 v[10:11], v[28:29], v[10:11]
	v_mul_f64 v[28:29], v[189:190], s[26:27]
	v_add_f64 v[24:25], v[24:25], v[225:226]
	v_add_f64 v[40:41], v[40:41], v[100:101]
	v_add_f64 v[102:103], v[116:117], v[102:103]
	v_fma_f64 v[116:117], v[183:184], s[36:37], v[150:151]
	v_fma_f64 v[100:101], v[191:192], s[18:19], v[229:230]
	v_add_f64 v[22:23], v[44:45], v[22:23]
	v_mul_f64 v[44:45], v[197:198], s[10:11]
	v_add_f64 v[28:29], v[28:29], v[74:75]
	v_add_f64 v[0:1], v[24:25], v[0:1]
	v_mul_f64 v[24:25], v[197:198], s[38:39]
	v_add_f64 v[26:27], v[26:27], v[40:41]
	v_add_f64 v[46:47], v[46:47], v[102:103]
	v_add_f64 v[114:115], v[116:117], v[114:115]
	v_fma_f64 v[116:117], v[181:182], s[36:37], -v[221:222]
	v_fma_f64 v[102:103], v[189:190], s[18:19], -v[241:242]
	v_fma_f64 v[40:41], v[227:228], s[30:31], v[48:49]
	v_add_f64 v[44:45], v[118:119], -v[44:45]
	v_mul_f64 v[48:49], v[231:232], s[38:39]
	v_add_f64 v[24:25], v[68:69], -v[24:25]
	v_add_f64 v[20:21], v[20:21], v[26:27]
	v_add_f64 v[38:39], v[38:39], v[46:47]
	;; [unrolled: 1-line block ×4, first 2 shown]
	v_fma_f64 v[26:27], v[223:224], s[2:3], v[219:220]
	v_mul_f64 v[114:115], v[187:188], s[8:9]
	v_mul_f64 v[46:47], v[217:218], s[2:3]
	v_add_f64 v[48:49], v[86:87], -v[48:49]
	v_add_f64 v[14:15], v[14:15], v[20:21]
	v_fma_f64 v[20:21], v[233:234], s[26:27], v[211:212]
	v_add_f64 v[40:41], v[40:41], v[100:101]
	v_add_f64 v[102:103], v[102:103], v[116:117]
	;; [unrolled: 1-line block ×3, first 2 shown]
	v_fma_f64 v[38:39], v[223:224], s[20:21], -v[54:55]
	v_mul_f64 v[100:101], v[179:180], s[56:57]
	v_fma_f64 v[116:117], v[181:182], s[18:19], v[112:113]
	v_fma_f64 v[112:113], v[181:182], s[18:19], -v[112:113]
	v_fma_f64 v[118:119], v[181:182], s[2:3], v[114:115]
	v_fma_f64 v[114:115], v[181:182], s[2:3], -v[114:115]
	v_add_f64 v[46:47], v[46:47], v[88:89]
	v_add_f64 v[22:23], v[48:49], v[22:23]
	v_mul_f64 v[48:49], v[233:234], s[30:31]
	v_add_f64 v[30:31], v[30:31], v[40:41]
	v_add_f64 v[42:43], v[42:43], v[102:103]
	;; [unrolled: 1-line block ×3, first 2 shown]
	v_fma_f64 v[26:27], v[247:248], s[34:35], v[56:57]
	v_mul_f64 v[40:41], v[189:190], s[30:31]
	v_mul_f64 v[56:57], v[185:186], s[56:57]
	v_fma_f64 v[104:105], v[177:178], s[34:35], v[100:101]
	v_fma_f64 v[102:103], v[177:178], s[36:37], v[60:61]
	v_fma_f64 v[60:61], v[177:178], s[36:37], -v[60:61]
	v_fma_f64 v[100:101], v[177:178], s[34:35], -v[100:101]
	v_add_f64 v[22:23], v[34:35], v[22:23]
	v_mul_f64 v[34:35], v[233:234], s[36:37]
	v_add_f64 v[48:49], v[48:49], v[96:97]
	v_add_f64 v[38:39], v[38:39], v[42:43]
	;; [unrolled: 1-line block ×4, first 2 shown]
	v_fma_f64 v[30:31], v[233:234], s[34:35], -v[58:59]
	v_add_f64 v[40:41], v[40:41], v[162:163]
	v_fma_f64 v[58:59], v[235:236], s[34:35], -v[56:57]
	v_fma_f64 v[56:57], v[235:236], s[34:35], v[56:57]
	v_fma_f64 v[108:109], v[183:184], s[18:19], -v[106:107]
	v_fma_f64 v[106:107], v[183:184], s[18:19], v[106:107]
	v_add_f64 v[34:35], v[34:35], v[90:91]
	v_add_f64 v[0:1], v[48:49], v[0:1]
	;; [unrolled: 1-line block ×3, first 2 shown]
	v_mul_f64 v[38:39], v[177:178], s[18:19]
	v_add_f64 v[40:41], v[40:41], v[42:43]
	v_mul_f64 v[42:43], v[251:252], s[52:53]
	v_add_f64 v[38:39], v[38:39], v[8:9]
	s_clause 0x1
	buffer_load_dword v8, off, s[60:63], 0 offset:684
	buffer_load_dword v9, off, s[60:63], 0 offset:688
	v_add_f64 v[42:43], v[172:173], -v[42:43]
	v_add_f64 v[40:41], v[46:47], v[40:41]
	v_mul_f64 v[46:47], v[237:238], s[18:19]
	v_add_f64 v[10:11], v[42:43], v[10:11]
	v_mul_f64 v[42:43], v[217:218], s[34:35]
	;; [unrolled: 2-line block ×3, first 2 shown]
	v_add_f64 v[46:47], v[46:47], v[98:99]
	v_add_f64 v[42:43], v[42:43], v[84:85]
	;; [unrolled: 1-line block ×3, first 2 shown]
	v_add_f64 v[40:41], v[215:216], -v[40:41]
	v_add_f64 v[22:23], v[40:41], v[22:23]
	v_mul_f64 v[40:41], v[237:238], s[40:41]
	s_waitcnt vmcnt(0)
	v_add_f64 v[38:39], v[38:39], v[8:9]
	s_clause 0x5
	buffer_load_dword v8, off, s[60:63], 0 offset:692
	buffer_load_dword v9, off, s[60:63], 0 offset:696
	;; [unrolled: 1-line block ×6, first 2 shown]
	v_add_f64 v[36:37], v[36:37], v[38:39]
	v_mul_f64 v[38:39], v[233:234], s[20:21]
	v_add_f64 v[28:29], v[28:29], v[36:37]
	v_mul_f64 v[36:37], v[237:238], s[34:35]
	;; [unrolled: 2-line block ×3, first 2 shown]
	v_add_f64 v[36:37], v[36:37], v[72:73]
	v_add_f64 v[28:29], v[52:53], v[28:29]
	v_fma_f64 v[54:55], v[235:236], s[36:37], -v[42:43]
	v_fma_f64 v[42:43], v[235:236], s[36:37], v[42:43]
	v_mul_f64 v[52:53], v[197:198], s[42:43]
	v_add_f64 v[28:29], v[34:35], v[28:29]
	v_mul_f64 v[34:35], v[168:169], s[16:17]
	s_waitcnt vmcnt(4)
	v_add_f64 v[38:39], v[38:39], v[8:9]
	s_clause 0x1
	buffer_load_dword v8, off, s[60:63], 0 offset:676
	buffer_load_dword v9, off, s[60:63], 0 offset:680
	v_add_f64 v[16:17], v[38:39], v[16:17]
	s_waitcnt vmcnt(0)
	v_add_f64 v[54:55], v[54:55], v[8:9]
	s_clause 0x1
	buffer_load_dword v8, off, s[60:63], 0 offset:652
	buffer_load_dword v9, off, s[60:63], 0 offset:656
	v_add_f64 v[54:55], v[108:109], v[54:55]
	v_mul_f64 v[108:109], v[195:196], s[8:9]
	v_fma_f64 v[110:111], v[183:184], s[2:3], -v[108:109]
	v_fma_f64 v[108:109], v[183:184], s[2:3], v[108:109]
	s_waitcnt vmcnt(0)
	v_add_f64 v[58:59], v[58:59], v[8:9]
	s_clause 0x1
	buffer_load_dword v8, off, s[60:63], 0 offset:660
	buffer_load_dword v9, off, s[60:63], 0 offset:664
	v_add_f64 v[58:59], v[110:111], v[58:59]
	s_waitcnt vmcnt(0)
	v_add_f64 v[104:105], v[104:105], v[8:9]
	s_clause 0x1
	buffer_load_dword v8, off, s[60:63], 0 offset:644
	buffer_load_dword v9, off, s[60:63], 0 offset:648
	v_add_f64 v[104:105], v[118:119], v[104:105]
	;; [unrolled: 6-line block ×3, first 2 shown]
	v_mul_f64 v[116:117], v[2:3], s[44:45]
	v_fma_f64 v[120:121], v[189:190], s[36:37], v[116:117]
	v_fma_f64 v[116:117], v[189:190], s[36:37], -v[116:117]
	v_add_f64 v[104:105], v[120:121], v[104:105]
	s_waitcnt vmcnt(0)
	v_add_f64 v[42:43], v[42:43], v[8:9]
	s_clause 0x1
	buffer_load_dword v8, off, s[60:63], 0 offset:636
	buffer_load_dword v9, off, s[60:63], 0 offset:640
	v_add_f64 v[42:43], v[106:107], v[42:43]
	v_mul_f64 v[106:107], v[199:200], s[16:17]
	v_fma_f64 v[110:111], v[191:192], s[20:21], -v[106:107]
	v_fma_f64 v[106:107], v[191:192], s[20:21], v[106:107]
	v_add_f64 v[54:55], v[110:111], v[54:55]
	v_add_f64 v[42:43], v[106:107], v[42:43]
	v_mul_f64 v[106:107], v[231:232], s[50:51]
	v_mul_f64 v[110:111], v[199:200], s[44:45]
	s_waitcnt vmcnt(0)
	v_add_f64 v[60:61], v[60:61], v[8:9]
	s_clause 0x1
	buffer_load_dword v8, off, s[60:63], 0 offset:604
	buffer_load_dword v9, off, s[60:63], 0 offset:608
	v_add_f64 v[60:61], v[112:113], v[60:61]
	v_fma_f64 v[112:113], v[191:192], s[36:37], -v[110:111]
	v_fma_f64 v[110:111], v[191:192], s[36:37], v[110:111]
	v_add_f64 v[58:59], v[112:113], v[58:59]
	s_waitcnt vmcnt(0)
	v_add_f64 v[56:57], v[56:57], v[8:9]
	s_clause 0x1
	buffer_load_dword v8, off, s[60:63], 0 offset:596
	buffer_load_dword v9, off, s[60:63], 0 offset:600
	v_add_f64 v[56:57], v[108:109], v[56:57]
	v_mul_f64 v[108:109], v[2:3], s[16:17]
	v_add_f64 v[56:57], v[110:111], v[56:57]
	v_fma_f64 v[118:119], v[189:190], s[20:21], v[108:109]
	v_fma_f64 v[108:109], v[189:190], s[20:21], -v[108:109]
	v_mul_f64 v[110:111], v[156:157], s[50:51]
	v_add_f64 v[102:103], v[118:119], v[102:103]
	v_add_f64 v[60:61], v[108:109], v[60:61]
	v_fma_f64 v[108:109], v[227:228], s[40:41], -v[106:107]
	v_fma_f64 v[106:107], v[227:228], s[40:41], v[106:107]
	v_fma_f64 v[118:119], v[217:218], s[40:41], v[110:111]
	v_fma_f64 v[110:111], v[217:218], s[40:41], -v[110:111]
	v_add_f64 v[54:55], v[108:109], v[54:55]
	v_mul_f64 v[108:109], v[231:232], s[24:25]
	v_add_f64 v[42:43], v[106:107], v[42:43]
	v_mul_f64 v[106:107], v[243:244], s[22:23]
	v_add_f64 v[60:61], v[110:111], v[60:61]
	v_add_f64 v[102:103], v[118:119], v[102:103]
	v_fma_f64 v[112:113], v[227:228], s[26:27], -v[108:109]
	v_fma_f64 v[108:109], v[227:228], s[26:27], v[108:109]
	v_fma_f64 v[110:111], v[239:240], s[26:27], -v[106:107]
	v_fma_f64 v[106:107], v[239:240], s[26:27], v[106:107]
	v_add_f64 v[58:59], v[112:113], v[58:59]
	v_add_f64 v[56:57], v[108:109], v[56:57]
	v_mul_f64 v[108:109], v[160:161], s[22:23]
	v_add_f64 v[54:55], v[110:111], v[54:55]
	v_mul_f64 v[110:111], v[243:244], s[10:11]
	;; [unrolled: 2-line block ×3, first 2 shown]
	v_fma_f64 v[118:119], v[223:224], s[26:27], v[108:109]
	v_fma_f64 v[108:109], v[223:224], s[26:27], -v[108:109]
	v_fma_f64 v[112:113], v[239:240], s[18:19], -v[110:111]
	v_fma_f64 v[110:111], v[239:240], s[18:19], v[110:111]
	v_add_f64 v[102:103], v[118:119], v[102:103]
	v_add_f64 v[60:61], v[108:109], v[60:61]
	v_fma_f64 v[108:109], v[247:248], s[2:3], -v[106:107]
	v_add_f64 v[56:57], v[110:111], v[56:57]
	v_mul_f64 v[110:111], v[175:176], s[54:55]
	v_fma_f64 v[106:107], v[247:248], s[2:3], v[106:107]
	v_add_f64 v[58:59], v[112:113], v[58:59]
	v_add_f64 v[54:55], v[108:109], v[54:55]
	v_mul_f64 v[108:109], v[251:252], s[42:43]
	v_fma_f64 v[118:119], v[233:234], s[2:3], v[110:111]
	v_fma_f64 v[110:111], v[233:234], s[2:3], -v[110:111]
	v_add_f64 v[38:39], v[106:107], v[42:43]
	v_fma_f64 v[42:43], v[237:238], s[20:21], v[34:35]
	v_fma_f64 v[34:35], v[237:238], s[20:21], -v[34:35]
	v_add_f64 v[106:107], v[44:45], v[18:19]
	v_fma_f64 v[112:113], v[247:248], s[40:41], -v[108:109]
	v_fma_f64 v[108:109], v[247:248], s[40:41], v[108:109]
	v_add_f64 v[60:61], v[110:111], v[60:61]
	v_add_f64 v[110:111], v[24:25], v[10:11]
	;; [unrolled: 1-line block ×4, first 2 shown]
	v_mul_f64 v[102:103], v[197:198], s[48:49]
	v_mul_f64 v[118:119], v[168:169], s[48:49]
	v_add_f64 v[56:57], v[108:109], v[56:57]
	v_add_f64 v[108:109], v[36:37], v[32:33]
	v_fma_f64 v[48:49], v[249:250], s[30:31], -v[102:103]
	v_fma_f64 v[132:133], v[249:250], s[30:31], v[102:103]
	v_fma_f64 v[138:139], v[237:238], s[30:31], -v[118:119]
	v_fma_f64 v[128:129], v[237:238], s[30:31], v[118:119]
	v_add_f64 v[118:119], v[48:49], v[54:55]
	v_add_f64 v[134:135], v[132:133], v[38:39]
	;; [unrolled: 1-line block ×3, first 2 shown]
	s_waitcnt vmcnt(0)
	v_add_f64 v[100:101], v[100:101], v[8:9]
	v_add_f64 v[100:101], v[114:115], v[100:101]
	v_mul_f64 v[114:115], v[156:157], s[24:25]
	s_clause 0x3
	buffer_load_dword v156, off, s[60:63], 0 offset:420
	buffer_load_dword v157, off, s[60:63], 0 offset:424
	;; [unrolled: 1-line block ×4, first 2 shown]
	v_add_f64 v[100:101], v[116:117], v[100:101]
	v_mul_f64 v[116:117], v[160:161], s[10:11]
	s_clause 0x5
	buffer_load_dword v160, off, s[60:63], 0 offset:436
	buffer_load_dword v161, off, s[60:63], 0 offset:440
	;; [unrolled: 1-line block ×6, first 2 shown]
	v_fma_f64 v[120:121], v[217:218], s[26:27], v[114:115]
	v_fma_f64 v[114:115], v[217:218], s[26:27], -v[114:115]
	v_add_f64 v[104:105], v[120:121], v[104:105]
	v_fma_f64 v[120:121], v[223:224], s[18:19], v[116:117]
	v_add_f64 v[100:101], v[114:115], v[100:101]
	v_mul_f64 v[114:115], v[175:176], s[42:43]
	v_fma_f64 v[116:117], v[223:224], s[18:19], -v[116:117]
	v_add_f64 v[104:105], v[120:121], v[104:105]
	v_fma_f64 v[120:121], v[233:234], s[40:41], v[114:115]
	v_fma_f64 v[114:115], v[233:234], s[40:41], -v[114:115]
	v_add_f64 v[100:101], v[116:117], v[100:101]
	v_mul_f64 v[116:117], v[197:198], s[16:17]
	v_add_f64 v[104:105], v[120:121], v[104:105]
	v_fma_f64 v[136:137], v[249:250], s[20:21], v[116:117]
	v_fma_f64 v[50:51], v[249:250], s[20:21], -v[116:117]
	v_add_f64 v[116:117], v[128:129], v[112:113]
	v_add_f64 v[138:139], v[136:137], v[56:57]
	;; [unrolled: 1-line block ×3, first 2 shown]
	s_waitcnt vmcnt(0)
	v_add_f64 v[52:53], v[2:3], -v[52:53]
	s_clause 0x1
	buffer_load_dword v2, off, s[60:63], 0 offset:372
	buffer_load_dword v3, off, s[60:63], 0 offset:376
	s_waitcnt vmcnt(0)
	v_add_f64 v[40:41], v[40:41], v[2:3]
	s_clause 0x1
	buffer_load_dword v2, off, s[60:63], 0 offset:580
	buffer_load_dword v3, off, s[60:63], 0 offset:584
	v_add_f64 v[112:113], v[40:41], v[28:29]
	s_waitcnt vmcnt(0)
	v_fma_f64 v[120:121], v[249:250], s[36:37], -v[2:3]
	s_clause 0x1
	buffer_load_dword v2, off, s[60:63], 0 offset:572
	buffer_load_dword v3, off, s[60:63], 0 offset:576
	s_waitcnt vmcnt(0)
	v_fma_f64 v[130:131], v[237:238], s[36:37], v[2:3]
	s_clause 0x1
	buffer_load_dword v2, off, s[60:63], 0 offset:588
	buffer_load_dword v3, off, s[60:63], 0 offset:592
	s_waitcnt vmcnt(0)
	v_fma_f64 v[8:9], v[237:238], s[26:27], -v[2:3]
	v_add_f64 v[2:3], v[120:121], v[14:15]
	s_clause 0x3
	buffer_load_dword v14, off, s[60:63], 0 offset:668
	buffer_load_dword v15, off, s[60:63], 0 offset:672
	;; [unrolled: 1-line block ×4, first 2 shown]
	v_add_f64 v[120:121], v[42:43], v[104:105]
	v_add_f64 v[104:105], v[46:47], v[0:1]
	;; [unrolled: 1-line block ×3, first 2 shown]
	s_waitcnt vmcnt(2)
	v_add_f64 v[102:103], v[14:15], v[12:13]
	s_waitcnt vmcnt(0)
	v_add_f64 v[126:127], v[10:11], v[66:67]
	s_clause 0x3
	buffer_load_dword v10, off, s[60:63], 0 offset:620
	buffer_load_dword v11, off, s[60:63], 0 offset:624
	;; [unrolled: 1-line block ×4, first 2 shown]
	v_add_f64 v[12:13], v[114:115], v[100:101]
	v_add_f64 v[114:115], v[52:53], v[22:23]
	;; [unrolled: 1-line block ×3, first 2 shown]
	v_mov_b32_e32 v34, v164
	v_mov_b32_e32 v35, v165
	;; [unrolled: 1-line block ×4, first 2 shown]
	s_waitcnt vmcnt(2)
	v_add_f64 v[124:125], v[10:11], v[64:65]
	s_waitcnt vmcnt(0)
	v_add_f64 v[100:101], v[0:1], v[16:17]
	s_clause 0x5
	buffer_load_dword v0, off, s[60:63], 0
	buffer_load_dword v164, off, s[60:63], 0 offset:452
	buffer_load_dword v165, off, s[60:63], 0 offset:456
	;; [unrolled: 1-line block ×5, first 2 shown]
	s_waitcnt vmcnt(5)
	v_mul_lo_u16 v10, v0, 17
	v_add_f64 v[0:1], v[130:131], v[20:21]
	v_add_f64 v[130:131], v[62:63], v[26:27]
	v_and_b32_e32 v8, 0xffff, v10
	s_waitcnt vmcnt(0)
	v_lshl_add_u32 v8, v8, 4, v9
	ds_write_b128 v8, v[124:127]
	ds_write_b128 v8, v[120:123] offset:16
	ds_write_b128 v8, v[116:119] offset:32
	;; [unrolled: 1-line block ×8, first 2 shown]
	s_clause 0x3
	buffer_load_dword v0, off, s[60:63], 0 offset:556
	buffer_load_dword v1, off, s[60:63], 0 offset:560
	;; [unrolled: 1-line block ×4, first 2 shown]
	s_waitcnt vmcnt(0)
	ds_write_b128 v8, v[0:3] offset:144
	ds_write_b128 v8, v[128:131] offset:160
	;; [unrolled: 1-line block ×8, first 2 shown]
.LBB0_17:
	s_or_b32 exec_lo, exec_lo, s1
	s_waitcnt lgkmcnt(0)
	s_waitcnt_vscnt null, 0x0
	s_barrier
	buffer_gl0_inv
	ds_read_b128 v[4:7], v255 offset:1360
	ds_read_b128 v[0:3], v255
	ds_read_b128 v[96:99], v255 offset:2720
	ds_read_b128 v[100:103], v255 offset:4080
	;; [unrolled: 1-line block ×9, first 2 shown]
	s_clause 0x7
	buffer_load_dword v66, off, s[60:63], 0 offset:164
	buffer_load_dword v67, off, s[60:63], 0 offset:168
	;; [unrolled: 1-line block ×8, first 2 shown]
	s_mov_b32 s8, 0xf8bb580b
	s_mov_b32 s9, 0xbfe14ced
	;; [unrolled: 1-line block ×7, first 2 shown]
	s_waitcnt lgkmcnt(10)
	v_mul_f64 v[10:11], v[36:37], v[4:5]
	v_mul_f64 v[8:9], v[36:37], v[6:7]
	s_mov_b32 s21, 0x3fda9628
	s_mov_b32 s22, 0x43842ef
	;; [unrolled: 1-line block ×20, first 2 shown]
	v_fma_f64 v[10:11], v[34:35], v[6:7], -v[10:11]
	v_fma_f64 v[8:9], v[34:35], v[4:5], v[8:9]
	s_mov_b32 s28, s22
	s_mov_b32 s36, s26
	;; [unrolled: 1-line block ×3, first 2 shown]
	s_waitcnt vmcnt(4) lgkmcnt(0)
	v_mul_f64 v[12:13], v[68:69], v[128:129]
	v_mul_f64 v[6:7], v[68:69], v[130:131]
	s_clause 0x17
	buffer_load_dword v68, off, s[60:63], 0 offset:180
	buffer_load_dword v69, off, s[60:63], 0 offset:184
	buffer_load_dword v70, off, s[60:63], 0 offset:188
	buffer_load_dword v71, off, s[60:63], 0 offset:192
	buffer_load_dword v52, off, s[60:63], 0 offset:68
	buffer_load_dword v53, off, s[60:63], 0 offset:72
	buffer_load_dword v54, off, s[60:63], 0 offset:76
	buffer_load_dword v55, off, s[60:63], 0 offset:80
	buffer_load_dword v132, off, s[60:63], 0 offset:148
	buffer_load_dword v133, off, s[60:63], 0 offset:152
	buffer_load_dword v134, off, s[60:63], 0 offset:156
	buffer_load_dword v135, off, s[60:63], 0 offset:160
	buffer_load_dword v48, off, s[60:63], 0 offset:52
	buffer_load_dword v49, off, s[60:63], 0 offset:56
	buffer_load_dword v50, off, s[60:63], 0 offset:60
	buffer_load_dword v51, off, s[60:63], 0 offset:64
	buffer_load_dword v62, off, s[60:63], 0 offset:132
	buffer_load_dword v63, off, s[60:63], 0 offset:136
	buffer_load_dword v64, off, s[60:63], 0 offset:140
	buffer_load_dword v65, off, s[60:63], 0 offset:144
	buffer_load_dword v58, off, s[60:63], 0 offset:116
	buffer_load_dword v59, off, s[60:63], 0 offset:120
	buffer_load_dword v60, off, s[60:63], 0 offset:124
	buffer_load_dword v61, off, s[60:63], 0 offset:128
	s_waitcnt vmcnt(24)
	v_mul_f64 v[14:15], v[40:41], v[98:99]
	v_mul_f64 v[16:17], v[40:41], v[96:97]
	v_add_f64 v[40:41], v[2:3], v[10:11]
	v_fma_f64 v[4:5], v[66:67], v[130:131], -v[12:13]
	v_fma_f64 v[6:7], v[66:67], v[128:129], v[6:7]
	v_fma_f64 v[14:15], v[38:39], v[96:97], v[14:15]
	v_fma_f64 v[16:17], v[38:39], v[98:99], -v[16:17]
	v_add_f64 v[38:39], v[0:1], v[8:9]
	v_add_f64 v[40:41], v[40:41], v[16:17]
	;; [unrolled: 1-line block ×3, first 2 shown]
	s_waitcnt vmcnt(20)
	v_mul_f64 v[20:21], v[70:71], v[124:125]
	s_waitcnt vmcnt(16)
	v_mul_f64 v[22:23], v[54:55], v[102:103]
	v_mul_f64 v[24:25], v[54:55], v[100:101]
	s_clause 0x3
	buffer_load_dword v54, off, s[60:63], 0 offset:100
	buffer_load_dword v55, off, s[60:63], 0 offset:104
	buffer_load_dword v56, off, s[60:63], 0 offset:108
	buffer_load_dword v57, off, s[60:63], 0 offset:112
	s_waitcnt vmcnt(16)
	v_mul_f64 v[26:27], v[134:135], v[122:123]
	v_mul_f64 v[28:29], v[134:135], v[120:121]
	s_waitcnt vmcnt(12)
	v_mul_f64 v[30:31], v[50:51], v[106:107]
	v_mul_f64 v[32:33], v[50:51], v[104:105]
	;; [unrolled: 3-line block ×4, first 2 shown]
	v_mul_f64 v[18:19], v[70:71], v[126:127]
	v_add_f64 v[50:51], v[8:9], v[6:7]
	v_add_f64 v[8:9], v[8:9], -v[6:7]
	s_waitcnt vmcnt(0)
	s_barrier
	buffer_gl0_inv
	v_fma_f64 v[20:21], v[68:69], v[126:127], -v[20:21]
	v_fma_f64 v[22:23], v[52:53], v[100:101], v[22:23]
	v_fma_f64 v[24:25], v[52:53], v[102:103], -v[24:25]
	v_fma_f64 v[26:27], v[132:133], v[120:121], v[26:27]
	;; [unrolled: 2-line block ×5, first 2 shown]
	v_fma_f64 v[42:43], v[58:59], v[110:111], -v[42:43]
	v_add_f64 v[48:49], v[10:11], -v[4:5]
	v_add_f64 v[10:11], v[10:11], v[4:5]
	v_fma_f64 v[18:19], v[68:69], v[124:125], v[18:19]
	v_add_f64 v[60:61], v[22:23], -v[26:27]
	v_add_f64 v[58:59], v[24:25], v[28:29]
	v_add_f64 v[62:63], v[24:25], -v[28:29]
	v_add_f64 v[24:25], v[40:41], v[24:25]
	v_add_f64 v[96:97], v[30:31], v[34:35]
	;; [unrolled: 1-line block ×3, first 2 shown]
	v_add_f64 v[100:101], v[32:33], -v[36:37]
	v_mul_f64 v[102:103], v[48:49], s[8:9]
	v_mul_f64 v[104:105], v[10:11], s[10:11]
	;; [unrolled: 1-line block ×4, first 2 shown]
	v_add_f64 v[52:53], v[14:15], v[18:19]
	v_mul_f64 v[40:41], v[10:11], s[24:25]
	v_mul_f64 v[110:111], v[48:49], s[26:27]
	v_add_f64 v[14:15], v[14:15], -v[18:19]
	v_mul_f64 v[136:137], v[58:59], s[38:39]
	v_mul_f64 v[130:131], v[62:63], s[22:23]
	v_add_f64 v[24:25], v[24:25], v[32:33]
	v_mul_f64 v[134:135], v[62:63], s[40:41]
	v_mul_f64 v[132:133], v[58:59], s[24:25]
	;; [unrolled: 1-line block ×4, first 2 shown]
	v_fma_f64 v[144:145], v[50:51], s[10:11], v[102:103]
	v_fma_f64 v[146:147], v[8:9], s[2:3], v[104:105]
	v_fma_f64 v[102:103], v[50:51], s[10:11], -v[102:103]
	v_fma_f64 v[104:105], v[8:9], s[8:9], v[104:105]
	v_fma_f64 v[148:149], v[50:51], s[20:21], v[106:107]
	;; [unrolled: 1-line block ×7, first 2 shown]
	v_fma_f64 v[106:107], v[50:51], s[20:21], -v[106:107]
	v_fma_f64 v[110:111], v[50:51], s[30:31], -v[110:111]
	v_mul_f64 v[140:141], v[62:63], s[8:9]
	v_mul_f64 v[142:143], v[58:59], s[10:11]
	;; [unrolled: 1-line block ×3, first 2 shown]
	v_fma_f64 v[199:200], v[60:61], s[34:35], v[136:137]
	v_mul_f64 v[58:59], v[58:59], s[30:31]
	v_add_f64 v[24:25], v[24:25], v[42:43]
	v_fma_f64 v[136:137], v[60:61], s[40:41], v[136:137]
	v_fma_f64 v[205:206], v[60:61], s[16:17], v[138:139]
	v_add_f64 v[144:145], v[0:1], v[144:145]
	v_add_f64 v[146:147], v[2:3], v[146:147]
	v_fma_f64 v[138:139], v[60:61], s[18:19], v[138:139]
	v_add_f64 v[108:109], v[2:3], v[108:109]
	v_add_f64 v[40:41], v[2:3], v[40:41]
	v_add_f64 v[106:107], v[0:1], v[106:107]
	v_add_f64 v[110:111], v[0:1], v[110:111]
	v_mul_f64 v[44:45], v[56:57], v[114:115]
	v_mul_f64 v[46:47], v[56:57], v[112:113]
	v_add_f64 v[56:57], v[22:23], v[26:27]
	v_add_f64 v[22:23], v[38:39], v[22:23]
	v_mul_f64 v[38:39], v[48:49], s[22:23]
	v_mul_f64 v[48:49], v[48:49], s[34:35]
	v_fma_f64 v[44:45], v[54:55], v[112:113], v[44:45]
	v_fma_f64 v[46:47], v[54:55], v[114:115], -v[46:47]
	v_add_f64 v[54:55], v[16:17], -v[20:21]
	v_add_f64 v[22:23], v[22:23], v[30:31]
	v_add_f64 v[16:17], v[16:17], v[20:21]
	v_mul_f64 v[112:113], v[10:11], s[30:31]
	v_mul_f64 v[10:11], v[10:11], s[38:39]
	v_fma_f64 v[152:153], v[50:51], s[24:25], v[38:39]
	v_fma_f64 v[38:39], v[50:51], s[24:25], -v[38:39]
	v_fma_f64 v[177:178], v[50:51], s[38:39], v[48:49]
	v_fma_f64 v[48:49], v[50:51], s[38:39], -v[48:49]
	v_fma_f64 v[197:198], v[56:57], s[38:39], v[134:135]
	v_fma_f64 v[201:202], v[56:57], s[20:21], v[32:33]
	v_fma_f64 v[32:33], v[56:57], s[20:21], -v[32:33]
	v_fma_f64 v[134:135], v[56:57], s[38:39], -v[134:135]
	v_add_f64 v[24:25], v[24:25], v[46:47]
	v_mul_f64 v[114:115], v[54:55], s[16:17]
	v_add_f64 v[22:23], v[22:23], v[12:13]
	v_mul_f64 v[118:119], v[54:55], s[26:27]
	v_mul_f64 v[120:121], v[16:17], s[30:31]
	;; [unrolled: 1-line block ×7, first 2 shown]
	v_fma_f64 v[175:176], v[8:9], s[36:37], v[112:113]
	v_fma_f64 v[112:113], v[8:9], s[26:27], v[112:113]
	;; [unrolled: 1-line block ×4, first 2 shown]
	v_mul_f64 v[126:127], v[54:55], s[28:29]
	v_mul_f64 v[54:55], v[54:55], s[2:3]
	v_add_f64 v[38:39], v[0:1], v[38:39]
	v_add_f64 v[24:25], v[24:25], v[36:37]
	v_fma_f64 v[10:11], v[52:53], s[20:21], v[114:115]
	v_add_f64 v[22:23], v[22:23], v[44:45]
	v_fma_f64 v[114:115], v[52:53], s[20:21], -v[114:115]
	v_fma_f64 v[181:182], v[52:53], s[30:31], v[118:119]
	v_fma_f64 v[183:184], v[14:15], s[36:37], v[120:121]
	v_add_f64 v[36:37], v[0:1], v[102:103]
	v_add_f64 v[102:103], v[2:3], v[104:105]
	;; [unrolled: 1-line block ×4, first 2 shown]
	v_fma_f64 v[50:51], v[14:15], s[18:19], v[116:117]
	v_fma_f64 v[116:117], v[14:15], s[16:17], v[116:117]
	;; [unrolled: 1-line block ×5, first 2 shown]
	v_fma_f64 v[122:123], v[52:53], s[38:39], -v[122:123]
	v_fma_f64 v[124:125], v[14:15], s[40:41], v[124:125]
	v_fma_f64 v[191:192], v[14:15], s[22:23], v[128:129]
	;; [unrolled: 1-line block ×6, first 2 shown]
	v_add_f64 v[150:151], v[0:1], v[152:153]
	v_add_f64 v[152:153], v[2:3], v[154:155]
	;; [unrolled: 1-line block ×11, first 2 shown]
	v_fma_f64 v[189:190], v[52:53], s[24:25], v[126:127]
	v_add_f64 v[0:1], v[0:1], v[48:49]
	v_add_f64 v[48:49], v[183:184], v[148:149]
	v_fma_f64 v[118:119], v[52:53], s[30:31], -v[118:119]
	v_fma_f64 v[126:127], v[52:53], s[24:25], -v[126:127]
	v_fma_f64 v[193:194], v[52:53], s[10:11], v[54:55]
	v_fma_f64 v[52:53], v[52:53], s[10:11], -v[54:55]
	v_fma_f64 v[54:55], v[60:61], s[28:29], v[132:133]
	v_add_f64 v[10:11], v[50:51], v[146:147]
	v_add_f64 v[38:39], v[122:123], v[38:39]
	;; [unrolled: 1-line block ×3, first 2 shown]
	v_fma_f64 v[132:133], v[60:61], s[22:23], v[132:133]
	v_add_f64 v[28:29], v[116:117], v[102:103]
	v_add_f64 v[22:23], v[22:23], v[26:27]
	;; [unrolled: 1-line block ×5, first 2 shown]
	v_fma_f64 v[130:131], v[56:57], s[24:25], -v[130:131]
	v_add_f64 v[114:115], v[191:192], v[173:174]
	v_add_f64 v[2:3], v[14:15], v[2:3]
	;; [unrolled: 1-line block ×4, first 2 shown]
	v_mul_f64 v[20:21], v[100:101], s[26:27]
	v_add_f64 v[108:109], v[189:190], v[154:155]
	v_fma_f64 v[24:25], v[56:57], s[10:11], v[140:141]
	v_add_f64 v[50:51], v[118:119], v[106:107]
	v_add_f64 v[110:111], v[126:127], v[110:111]
	;; [unrolled: 1-line block ×4, first 2 shown]
	v_mul_f64 v[52:53], v[98:99], s[24:25]
	v_add_f64 v[10:11], v[54:55], v[10:11]
	v_fma_f64 v[54:55], v[56:57], s[10:11], -v[140:141]
	v_fma_f64 v[120:121], v[60:61], s[8:9], v[142:143]
	v_fma_f64 v[122:123], v[56:57], s[30:31], v[62:63]
	;; [unrolled: 1-line block ×3, first 2 shown]
	v_add_f64 v[14:15], v[22:23], v[18:19]
	v_add_f64 v[18:19], v[30:31], -v[34:35]
	v_mul_f64 v[22:23], v[98:99], s[30:31]
	v_fma_f64 v[30:31], v[60:61], s[2:3], v[142:143]
	v_add_f64 v[34:35], v[197:198], v[36:37]
	v_add_f64 v[36:37], v[199:200], v[48:49]
	v_mul_f64 v[48:49], v[100:101], s[28:29]
	v_add_f64 v[32:33], v[32:33], v[38:39]
	v_add_f64 v[38:39], v[138:139], v[40:41]
	v_fma_f64 v[40:41], v[56:57], s[30:31], -v[62:63]
	v_fma_f64 v[56:57], v[60:61], s[26:27], v[58:59]
	v_fma_f64 v[58:59], v[96:97], s[30:31], v[20:21]
	v_add_f64 v[104:105], v[185:186], v[150:151]
	v_mul_f64 v[62:63], v[100:101], s[8:9]
	v_add_f64 v[106:107], v[187:188], v[152:153]
	v_add_f64 v[28:29], v[132:133], v[28:29]
	;; [unrolled: 1-line block ×3, first 2 shown]
	v_mul_f64 v[108:109], v[98:99], s[10:11]
	v_add_f64 v[26:27], v[130:131], v[26:27]
	v_fma_f64 v[20:21], v[96:97], s[30:31], -v[20:21]
	v_add_f64 v[50:51], v[134:135], v[50:51]
	v_add_f64 v[102:103], v[136:137], v[102:103]
	;; [unrolled: 1-line block ×3, first 2 shown]
	v_fma_f64 v[126:127], v[18:19], s[22:23], v[52:53]
	v_fma_f64 v[60:61], v[18:19], s[36:37], v[22:23]
	;; [unrolled: 1-line block ×3, first 2 shown]
	v_add_f64 v[30:31], v[30:31], v[114:115]
	v_fma_f64 v[52:53], v[18:19], s[28:29], v[52:53]
	v_fma_f64 v[114:115], v[96:97], s[24:25], v[48:49]
	v_fma_f64 v[48:49], v[96:97], s[24:25], -v[48:49]
	v_add_f64 v[110:111], v[120:121], v[112:113]
	v_mul_f64 v[112:113], v[100:101], s[34:35]
	v_mul_f64 v[120:121], v[98:99], s[38:39]
	;; [unrolled: 1-line block ×4, first 2 shown]
	v_add_f64 v[0:1], v[40:41], v[0:1]
	v_add_f64 v[2:3], v[56:57], v[2:3]
	;; [unrolled: 1-line block ×3, first 2 shown]
	v_add_f64 v[8:9], v[42:43], -v[46:47]
	v_add_f64 v[104:105], v[201:202], v[104:105]
	v_add_f64 v[116:117], v[193:194], v[175:176]
	;; [unrolled: 1-line block ×8, first 2 shown]
	v_fma_f64 v[42:43], v[96:97], s[10:11], v[62:63]
	v_add_f64 v[46:47], v[22:23], v[28:29]
	v_fma_f64 v[22:23], v[18:19], s[2:3], v[108:109]
	v_add_f64 v[26:27], v[114:115], v[34:35]
	v_fma_f64 v[34:35], v[96:97], s[10:11], -v[62:63]
	v_add_f64 v[28:29], v[126:127], v[36:37]
	v_add_f64 v[36:37], v[48:49], v[50:51]
	;; [unrolled: 1-line block ×3, first 2 shown]
	v_fma_f64 v[50:51], v[18:19], s[8:9], v[108:109]
	v_fma_f64 v[52:53], v[96:97], s[38:39], v[112:113]
	;; [unrolled: 1-line block ×3, first 2 shown]
	v_fma_f64 v[60:61], v[96:97], s[38:39], -v[112:113]
	v_fma_f64 v[62:63], v[18:19], s[34:35], v[120:121]
	v_fma_f64 v[102:103], v[96:97], s[20:21], v[100:101]
	;; [unrolled: 1-line block ×3, first 2 shown]
	v_fma_f64 v[96:97], v[96:97], s[20:21], -v[100:101]
	v_fma_f64 v[18:19], v[18:19], s[18:19], v[98:99]
	v_add_f64 v[98:99], v[12:13], v[44:45]
	v_add_f64 v[12:13], v[12:13], -v[44:45]
	v_mul_f64 v[44:45], v[8:9], s[34:35]
	v_add_f64 v[116:117], v[122:123], v[116:117]
	v_mul_f64 v[100:101], v[10:11], s[38:39]
	v_add_f64 v[42:43], v[42:43], v[104:105]
	v_mul_f64 v[104:105], v[8:9], s[2:3]
	v_mul_f64 v[112:113], v[10:11], s[10:11]
	v_add_f64 v[118:119], v[124:125], v[118:119]
	v_add_f64 v[106:107], v[22:23], v[106:107]
	v_mul_f64 v[22:23], v[8:9], s[26:27]
	v_mul_f64 v[114:115], v[10:11], s[30:31]
	v_add_f64 v[32:33], v[34:35], v[32:33]
	v_mul_f64 v[34:35], v[8:9], s[18:19]
	v_mul_f64 v[120:121], v[10:11], s[20:21]
	;; [unrolled: 1-line block ×4, first 2 shown]
	v_add_f64 v[50:51], v[50:51], v[38:39]
	v_add_f64 v[38:39], v[52:53], v[24:25]
	;; [unrolled: 1-line block ×7, first 2 shown]
	v_fma_f64 v[0:1], v[98:99], s[38:39], v[44:45]
	v_fma_f64 v[24:25], v[98:99], s[38:39], -v[44:45]
	v_fma_f64 v[18:19], v[12:13], s[40:41], v[100:101]
	v_add_f64 v[60:61], v[102:103], v[116:117]
	v_fma_f64 v[30:31], v[98:99], s[10:11], v[104:105]
	v_fma_f64 v[44:45], v[12:13], s[8:9], v[112:113]
	v_add_f64 v[62:63], v[108:109], v[118:119]
	v_fma_f64 v[102:103], v[98:99], s[10:11], -v[104:105]
	v_fma_f64 v[104:105], v[98:99], s[30:31], v[22:23]
	v_fma_f64 v[108:109], v[12:13], s[36:37], v[114:115]
	v_fma_f64 v[110:111], v[98:99], s[30:31], -v[22:23]
	v_fma_f64 v[116:117], v[98:99], s[20:21], v[34:35]
	v_fma_f64 v[118:119], v[12:13], s[16:17], v[120:121]
	v_fma_f64 v[122:123], v[98:99], s[24:25], v[8:9]
	v_fma_f64 v[124:125], v[12:13], s[28:29], v[10:11]
	v_fma_f64 v[34:35], v[98:99], s[20:21], -v[34:35]
	v_fma_f64 v[98:99], v[98:99], s[24:25], -v[8:9]
	v_fma_f64 v[126:127], v[12:13], s[22:23], v[10:11]
	v_fma_f64 v[120:121], v[12:13], s[18:19], v[120:121]
	;; [unrolled: 1-line block ×5, first 2 shown]
	v_add_f64 v[8:9], v[16:17], v[4:5]
	v_add_f64 v[10:11], v[0:1], v[40:41]
	;; [unrolled: 1-line block ×21, first 2 shown]
	ds_write_b128 v204, v[6:9]
	ds_write_b128 v204, v[10:13] offset:272
	ds_write_b128 v204, v[14:17] offset:544
	ds_write_b128 v204, v[22:25] offset:816
	ds_write_b128 v204, v[30:33] offset:1088
	ds_write_b128 v204, v[38:41] offset:1360
	ds_write_b128 v204, v[42:45] offset:1632
	ds_write_b128 v204, v[34:37] offset:1904
	ds_write_b128 v204, v[26:29] offset:2176
	ds_write_b128 v204, v[18:21] offset:2448
	ds_write_b128 v204, v[0:3] offset:2720
	s_waitcnt lgkmcnt(0)
	s_barrier
	buffer_gl0_inv
	ds_read_b128 v[8:11], v255
	ds_read_b128 v[4:7], v255 offset:1360
	ds_read_b128 v[32:35], v255 offset:2992
	;; [unrolled: 1-line block ×9, first 2 shown]
	v_add_nc_u32_e32 v44, 0x550, v76
	s_and_saveexec_b32 s1, s0
	s_cbranch_execz .LBB0_19
; %bb.18:
	ds_read_b128 v[0:3], v255 offset:2720
	ds_read_b128 v[211:214], v255 offset:5712
	;; [unrolled: 1-line block ×5, first 2 shown]
.LBB0_19:
	s_or_b32 exec_lo, exec_lo, s1
	s_clause 0x1b
	buffer_load_dword v63, off, s[60:63], 0 offset:196
	buffer_load_dword v64, off, s[60:63], 0 offset:200
	;; [unrolled: 1-line block ×28, first 2 shown]
	s_mov_b32 s8, 0x134454ff
	s_mov_b32 s9, 0xbfee6f0e
	;; [unrolled: 1-line block ×10, first 2 shown]
	s_waitcnt vmcnt(24) lgkmcnt(7)
	v_mul_f64 v[45:46], v[65:66], v[34:35]
	s_waitcnt vmcnt(20) lgkmcnt(5)
	v_mul_f64 v[49:50], v[78:79], v[38:39]
	v_mul_f64 v[51:52], v[78:79], v[36:37]
	s_waitcnt vmcnt(16) lgkmcnt(3)
	v_mul_f64 v[53:54], v[70:71], v[30:31]
	v_mul_f64 v[59:60], v[70:71], v[28:29]
	;; [unrolled: 1-line block ×3, first 2 shown]
	s_waitcnt vmcnt(12) lgkmcnt(1)
	v_mul_f64 v[55:56], v[74:75], v[40:41]
	v_mul_f64 v[57:58], v[74:75], v[42:43]
	s_waitcnt vmcnt(8)
	v_mul_f64 v[61:62], v[82:83], v[14:15]
	s_waitcnt vmcnt(4)
	;; [unrolled: 2-line block ×3, first 2 shown]
	v_mul_f64 v[70:71], v[86:87], v[22:23]
	v_mul_f64 v[74:75], v[82:83], v[12:13]
	;; [unrolled: 1-line block ×3, first 2 shown]
	s_waitcnt lgkmcnt(0)
	v_mul_f64 v[82:83], v[94:95], v[26:27]
	v_mul_f64 v[86:87], v[86:87], v[20:21]
	;; [unrolled: 1-line block ×3, first 2 shown]
	v_fma_f64 v[32:33], v[63:64], v[32:33], v[45:46]
	v_fma_f64 v[36:37], v[76:77], v[36:37], v[49:50]
	v_fma_f64 v[38:39], v[76:77], v[38:39], -v[51:52]
	v_fma_f64 v[28:29], v[68:69], v[28:29], v[53:54]
	v_fma_f64 v[30:31], v[68:69], v[30:31], -v[59:60]
	v_fma_f64 v[34:35], v[63:64], v[34:35], -v[47:48]
	;; [unrolled: 1-line block ×3, first 2 shown]
	v_fma_f64 v[40:41], v[72:73], v[40:41], v[57:58]
	v_fma_f64 v[12:13], v[80:81], v[12:13], v[61:62]
	v_fma_f64 v[16:17], v[88:89], v[16:17], v[66:67]
	v_fma_f64 v[20:21], v[84:85], v[20:21], v[70:71]
	v_fma_f64 v[14:15], v[80:81], v[14:15], -v[74:75]
	v_fma_f64 v[18:19], v[88:89], v[18:19], -v[78:79]
	v_fma_f64 v[24:25], v[92:93], v[24:25], v[82:83]
	v_fma_f64 v[22:23], v[84:85], v[22:23], -v[86:87]
	v_fma_f64 v[26:27], v[92:93], v[26:27], -v[90:91]
	v_add_f64 v[45:46], v[8:9], v[32:33]
	v_add_f64 v[55:56], v[32:33], -v[36:37]
	v_add_f64 v[61:62], v[36:37], -v[32:33]
	v_add_f64 v[47:48], v[36:37], v[28:29]
	v_add_f64 v[57:58], v[38:39], v[30:31]
	;; [unrolled: 1-line block ×5, first 2 shown]
	v_add_f64 v[49:50], v[34:35], -v[42:43]
	v_add_f64 v[32:33], v[32:33], -v[40:41]
	v_add_f64 v[69:70], v[16:17], v[20:21]
	v_add_f64 v[53:54], v[38:39], -v[30:31]
	v_add_f64 v[59:60], v[40:41], -v[28:29]
	v_add_f64 v[75:76], v[12:13], v[24:25]
	v_add_f64 v[79:80], v[18:19], v[22:23]
	;; [unrolled: 1-line block ×3, first 2 shown]
	v_add_f64 v[71:72], v[36:37], -v[28:29]
	v_add_f64 v[85:86], v[4:5], v[12:13]
	v_add_f64 v[95:96], v[6:7], v[14:15]
	v_add_f64 v[73:74], v[34:35], -v[38:39]
	v_add_f64 v[34:35], v[38:39], -v[34:35]
	;; [unrolled: 1-line block ×3, first 2 shown]
	v_add_f64 v[36:37], v[45:46], v[36:37]
	v_add_f64 v[77:78], v[42:43], -v[30:31]
	v_add_f64 v[65:66], v[28:29], -v[40:41]
	v_fma_f64 v[47:48], v[47:48], -0.5, v[8:9]
	v_fma_f64 v[57:58], v[57:58], -0.5, v[10:11]
	v_add_f64 v[38:39], v[67:68], v[38:39]
	v_fma_f64 v[10:11], v[63:64], -0.5, v[10:11]
	v_fma_f64 v[8:9], v[51:52], -0.5, v[8:9]
	v_add_f64 v[51:52], v[18:19], -v[22:23]
	v_add_f64 v[81:82], v[30:31], -v[42:43]
	v_fma_f64 v[69:70], v[69:70], -0.5, v[4:5]
	v_add_f64 v[87:88], v[14:15], -v[26:27]
	v_add_f64 v[55:56], v[55:56], v[59:60]
	v_fma_f64 v[4:5], v[75:76], -0.5, v[4:5]
	v_fma_f64 v[75:76], v[79:80], -0.5, v[6:7]
	;; [unrolled: 1-line block ×3, first 2 shown]
	v_add_f64 v[89:90], v[12:13], -v[16:17]
	v_add_f64 v[93:94], v[16:17], -v[12:13]
	;; [unrolled: 1-line block ×4, first 2 shown]
	v_add_f64 v[16:17], v[85:86], v[16:17]
	v_add_f64 v[18:19], v[95:96], v[18:19]
	v_add_f64 v[91:92], v[24:25], -v[20:21]
	v_add_f64 v[12:13], v[12:13], -v[24:25]
	v_add_f64 v[28:29], v[36:37], v[28:29]
	v_fma_f64 v[83:84], v[49:50], s[8:9], v[47:48]
	v_fma_f64 v[67:68], v[32:33], s[16:17], v[57:58]
	;; [unrolled: 1-line block ×8, first 2 shown]
	v_add_f64 v[30:31], v[38:39], v[30:31]
	v_add_f64 v[61:62], v[61:62], v[65:66]
	v_fma_f64 v[85:86], v[51:52], s[16:17], v[4:5]
	v_fma_f64 v[4:5], v[51:52], s[8:9], v[4:5]
	v_fma_f64 v[95:96], v[97:98], s[8:9], v[6:7]
	v_fma_f64 v[6:7], v[97:98], s[16:17], v[6:7]
	v_add_f64 v[34:35], v[34:35], v[81:82]
	v_add_f64 v[79:80], v[22:23], -v[26:27]
	v_fma_f64 v[65:66], v[87:88], s[8:9], v[69:70]
	v_fma_f64 v[69:70], v[87:88], s[16:17], v[69:70]
	v_add_f64 v[81:82], v[18:19], v[22:23]
	v_add_f64 v[63:64], v[20:21], -v[24:25]
	v_add_f64 v[45:46], v[26:27], -v[22:23]
	v_fma_f64 v[36:37], v[12:13], s[16:17], v[75:76]
	v_fma_f64 v[83:84], v[53:54], s[2:3], v[83:84]
	;; [unrolled: 1-line block ×3, first 2 shown]
	v_add_f64 v[67:68], v[73:74], v[77:78]
	v_fma_f64 v[47:48], v[53:54], s[10:11], v[47:48]
	v_fma_f64 v[53:54], v[49:50], s[2:3], v[101:102]
	v_fma_f64 v[59:60], v[32:33], s[10:11], v[59:60]
	v_fma_f64 v[49:50], v[49:50], s[10:11], v[8:9]
	v_fma_f64 v[32:33], v[32:33], s[2:3], v[10:11]
	v_fma_f64 v[57:58], v[71:72], s[2:3], v[57:58]
	v_add_f64 v[71:72], v[16:17], v[20:21]
	v_add_f64 v[73:74], v[89:90], v[91:92]
	v_fma_f64 v[77:78], v[87:88], s[10:11], v[4:5]
	v_add_f64 v[4:5], v[28:29], v[40:41]
	v_fma_f64 v[89:90], v[12:13], s[2:3], v[6:7]
	;; [unrolled: 2-line block ×3, first 2 shown]
	v_fma_f64 v[65:66], v[51:52], s[2:3], v[65:66]
	v_fma_f64 v[51:52], v[51:52], s[10:11], v[69:70]
	;; [unrolled: 1-line block ×4, first 2 shown]
	v_add_f64 v[79:80], v[14:15], v[79:80]
	v_add_f64 v[26:27], v[81:82], v[26:27]
	v_fma_f64 v[8:9], v[55:56], s[18:19], v[83:84]
	v_fma_f64 v[85:86], v[97:98], s[10:11], v[36:37]
	;; [unrolled: 1-line block ×9, first 2 shown]
	v_add_f64 v[24:25], v[71:72], v[24:25]
	v_add_f64 v[45:46], v[99:100], v[45:46]
	;; [unrolled: 1-line block ×3, first 2 shown]
	ds_write_b128 v203, v[4:7]
	ds_write_b128 v203, v[8:11] offset:2992
	ds_write_b128 v203, v[16:19] offset:5984
	;; [unrolled: 1-line block ×5, first 2 shown]
	s_clause 0x1
	buffer_load_dword v4, off, s[60:63], 0
	buffer_load_dword v5, off, s[60:63], 0 offset:4
	v_fma_f64 v[75:76], v[97:98], s[2:3], v[75:76]
	v_fma_f64 v[28:29], v[73:74], s[18:19], v[65:66]
	;; [unrolled: 1-line block ×9, first 2 shown]
	ds_write_b128 v44, v[28:31] offset:2992
	ds_write_b128 v44, v[36:39] offset:5984
	;; [unrolled: 1-line block ×4, first 2 shown]
	s_waitcnt vmcnt(1)
	v_lshlrev_b32_e32 v4, 4, v4
	s_waitcnt vmcnt(0)
	v_lshl_add_u32 v4, v5, 4, v4
	s_and_saveexec_b32 s1, s0
	s_cbranch_execz .LBB0_21
; %bb.20:
	s_clause 0xf
	buffer_load_dword v33, off, s[60:63], 0 offset:356
	buffer_load_dword v34, off, s[60:63], 0 offset:360
	;; [unrolled: 1-line block ×16, first 2 shown]
	s_waitcnt vmcnt(12)
	v_mul_f64 v[5:6], v[35:36], v[164:165]
	s_waitcnt vmcnt(8)
	v_mul_f64 v[7:8], v[23:24], v[211:212]
	;; [unrolled: 2-line block ×4, first 2 shown]
	v_mul_f64 v[13:14], v[35:36], v[166:167]
	v_mul_f64 v[15:16], v[31:32], v[162:163]
	;; [unrolled: 1-line block ×4, first 2 shown]
	v_fma_f64 v[5:6], v[33:34], v[166:167], -v[5:6]
	v_fma_f64 v[7:8], v[21:22], v[213:214], -v[7:8]
	;; [unrolled: 1-line block ×4, first 2 shown]
	v_fma_f64 v[13:14], v[33:34], v[164:165], v[13:14]
	v_fma_f64 v[15:16], v[29:30], v[160:161], v[15:16]
	;; [unrolled: 1-line block ×4, first 2 shown]
	v_add_f64 v[33:34], v[2:3], v[7:8]
	v_add_f64 v[21:22], v[7:8], v[9:10]
	;; [unrolled: 1-line block ×3, first 2 shown]
	v_add_f64 v[37:38], v[7:8], -v[9:10]
	v_add_f64 v[25:26], v[13:14], v[15:16]
	v_add_f64 v[35:36], v[0:1], v[17:18]
	;; [unrolled: 1-line block ×3, first 2 shown]
	v_add_f64 v[29:30], v[13:14], -v[15:16]
	v_add_f64 v[31:32], v[17:18], -v[19:20]
	;; [unrolled: 1-line block ×8, first 2 shown]
	v_fma_f64 v[21:22], v[21:22], -0.5, v[2:3]
	v_fma_f64 v[2:3], v[23:24], -0.5, v[2:3]
	v_add_f64 v[23:24], v[5:6], -v[11:12]
	v_fma_f64 v[25:26], v[25:26], -0.5, v[0:1]
	v_add_f64 v[13:14], v[35:36], v[13:14]
	v_fma_f64 v[0:1], v[27:28], -0.5, v[0:1]
	v_add_f64 v[27:28], v[5:6], -v[7:8]
	v_add_f64 v[7:8], v[7:8], -v[5:6]
	v_add_f64 v[5:6], v[33:34], v[5:6]
	v_fma_f64 v[33:34], v[29:30], s[16:17], v[21:22]
	v_fma_f64 v[21:22], v[29:30], s[8:9], v[21:22]
	v_fma_f64 v[35:36], v[31:32], s[8:9], v[2:3]
	v_fma_f64 v[2:3], v[31:32], s[16:17], v[2:3]
	v_fma_f64 v[49:50], v[37:38], s[8:9], v[25:26]
	v_fma_f64 v[51:52], v[23:24], s[16:17], v[0:1]
	v_fma_f64 v[0:1], v[23:24], s[8:9], v[0:1]
	v_fma_f64 v[25:26], v[37:38], s[16:17], v[25:26]
	v_add_f64 v[27:28], v[27:28], v[39:40]
	v_add_f64 v[39:40], v[7:8], v[41:42]
	;; [unrolled: 1-line block ×6, first 2 shown]
	v_fma_f64 v[11:12], v[31:32], s[2:3], v[33:34]
	v_fma_f64 v[13:14], v[31:32], s[10:11], v[21:22]
	;; [unrolled: 1-line block ×8, first 2 shown]
	v_add_f64 v[2:3], v[5:6], v[9:10]
	v_add_f64 v[0:1], v[7:8], v[19:20]
	v_fma_f64 v[7:8], v[27:28], s[18:19], v[11:12]
	v_fma_f64 v[11:12], v[27:28], s[18:19], v[13:14]
	;; [unrolled: 1-line block ×8, first 2 shown]
	ds_write_b128 v4, v[0:3] offset:2720
	ds_write_b128 v4, v[17:20] offset:5712
	;; [unrolled: 1-line block ×5, first 2 shown]
.LBB0_21:
	s_or_b32 exec_lo, exec_lo, s1
	s_waitcnt lgkmcnt(0)
	s_barrier
	buffer_gl0_inv
	s_clause 0x1
	buffer_load_dword v17, off, s[60:63], 0 offset:12
	buffer_load_dword v18, off, s[60:63], 0 offset:16
	s_and_b32 s0, exec_lo, vcc_lo
	s_mov_b32 exec_lo, s0
	s_cbranch_execz .LBB0_23
; %bb.22:
	buffer_load_dword v18, off, s[60:63], 0 ; 4-byte Folded Reload
	s_waitcnt vmcnt(2)
	v_mad_u64_u32 v[15:16], null, s6, v17, 0
	s_mov_b32 s0, 0xfa401186
	s_mov_b32 s1, 0x3f5185e2
	s_mul_i32 s2, s5, 0x370
	s_mul_i32 s3, s4, 0x370
	s_waitcnt vmcnt(0)
	v_lshlrev_b32_e32 v19, 4, v18
	global_load_dwordx4 v[0:3], v19, s[12:13]
	ds_read_b128 v[5:8], v203
	ds_read_b128 v[9:12], v4 offset:880
	s_waitcnt vmcnt(0) lgkmcnt(1)
	v_mul_f64 v[13:14], v[7:8], v[2:3]
	v_mul_f64 v[2:3], v[5:6], v[2:3]
	v_fma_f64 v[5:6], v[5:6], v[0:1], v[13:14]
	v_fma_f64 v[2:3], v[0:1], v[7:8], -v[2:3]
	v_mad_u64_u32 v[7:8], null, s4, v18, 0
	v_mov_b32_e32 v0, v16
	v_mov_b32_e32 v1, v8
	v_mad_u64_u32 v[13:14], null, s7, v17, v[0:1]
	v_mov_b32_e32 v16, v13
	v_mad_u64_u32 v[17:18], null, s5, v18, v[1:2]
	v_mul_f64 v[0:1], v[5:6], s[0:1]
	v_mul_f64 v[2:3], v[2:3], s[0:1]
	v_lshlrev_b64 v[5:6], 4, v[15:16]
	s_mul_hi_u32 s5, s4, 0x370
	s_add_i32 s2, s5, s2
	v_mov_b32_e32 v8, v17
	v_add_co_u32 v5, vcc_lo, s14, v5
	v_add_co_ci_u32_e32 v6, vcc_lo, s15, v6, vcc_lo
	v_lshlrev_b64 v[7:8], 4, v[7:8]
	v_add_co_u32 v5, vcc_lo, v5, v7
	v_add_co_ci_u32_e32 v6, vcc_lo, v6, v8, vcc_lo
	v_add_co_u32 v13, vcc_lo, v5, s3
	global_store_dwordx4 v[5:6], v[0:3], off
	global_load_dwordx4 v[0:3], v19, s[12:13] offset:880
	v_add_co_ci_u32_e32 v14, vcc_lo, s2, v6, vcc_lo
	s_waitcnt vmcnt(0) lgkmcnt(0)
	v_mul_f64 v[7:8], v[11:12], v[2:3]
	v_mul_f64 v[2:3], v[9:10], v[2:3]
	v_fma_f64 v[7:8], v[9:10], v[0:1], v[7:8]
	v_fma_f64 v[2:3], v[0:1], v[11:12], -v[2:3]
	v_mul_f64 v[0:1], v[7:8], s[0:1]
	v_mul_f64 v[2:3], v[2:3], s[0:1]
	global_store_dwordx4 v[13:14], v[0:3], off
	global_load_dwordx4 v[0:3], v19, s[12:13] offset:1760
	ds_read_b128 v[5:8], v4 offset:1760
	ds_read_b128 v[9:12], v4 offset:2640
	v_add_co_u32 v19, s4, s12, v19
	v_add_co_ci_u32_e64 v20, null, s13, 0, s4
	s_waitcnt vmcnt(0) lgkmcnt(1)
	v_mul_f64 v[15:16], v[7:8], v[2:3]
	v_mul_f64 v[2:3], v[5:6], v[2:3]
	v_fma_f64 v[5:6], v[5:6], v[0:1], v[15:16]
	v_fma_f64 v[2:3], v[0:1], v[7:8], -v[2:3]
	v_mul_f64 v[0:1], v[5:6], s[0:1]
	v_mul_f64 v[2:3], v[2:3], s[0:1]
	v_add_co_u32 v5, vcc_lo, v13, s3
	v_add_co_ci_u32_e32 v6, vcc_lo, s2, v14, vcc_lo
	v_add_co_u32 v7, vcc_lo, 0x800, v19
	v_add_co_ci_u32_e32 v8, vcc_lo, 0, v20, vcc_lo
	global_store_dwordx4 v[5:6], v[0:3], off
	global_load_dwordx4 v[0:3], v[7:8], off offset:592
	s_waitcnt vmcnt(0) lgkmcnt(0)
	v_mul_f64 v[13:14], v[11:12], v[2:3]
	v_mul_f64 v[2:3], v[9:10], v[2:3]
	v_fma_f64 v[9:10], v[9:10], v[0:1], v[13:14]
	v_fma_f64 v[2:3], v[0:1], v[11:12], -v[2:3]
	v_add_co_u32 v13, vcc_lo, v5, s3
	v_add_co_ci_u32_e32 v14, vcc_lo, s2, v6, vcc_lo
	v_mul_f64 v[0:1], v[9:10], s[0:1]
	v_mul_f64 v[2:3], v[2:3], s[0:1]
	global_store_dwordx4 v[13:14], v[0:3], off
	global_load_dwordx4 v[0:3], v[7:8], off offset:1472
	ds_read_b128 v[5:8], v4 offset:3520
	ds_read_b128 v[9:12], v4 offset:4400
	s_waitcnt vmcnt(0) lgkmcnt(1)
	v_mul_f64 v[15:16], v[7:8], v[2:3]
	v_mul_f64 v[2:3], v[5:6], v[2:3]
	v_fma_f64 v[5:6], v[5:6], v[0:1], v[15:16]
	v_fma_f64 v[2:3], v[0:1], v[7:8], -v[2:3]
	v_mul_f64 v[0:1], v[5:6], s[0:1]
	v_mul_f64 v[2:3], v[2:3], s[0:1]
	v_add_co_u32 v5, vcc_lo, v13, s3
	v_add_co_ci_u32_e32 v6, vcc_lo, s2, v14, vcc_lo
	v_add_co_u32 v7, vcc_lo, 0x1000, v19
	v_add_co_ci_u32_e32 v8, vcc_lo, 0, v20, vcc_lo
	global_store_dwordx4 v[5:6], v[0:3], off
	global_load_dwordx4 v[0:3], v[7:8], off offset:304
	s_waitcnt vmcnt(0) lgkmcnt(0)
	v_mul_f64 v[13:14], v[11:12], v[2:3]
	v_mul_f64 v[2:3], v[9:10], v[2:3]
	v_fma_f64 v[9:10], v[9:10], v[0:1], v[13:14]
	v_fma_f64 v[2:3], v[0:1], v[11:12], -v[2:3]
	v_add_co_u32 v13, vcc_lo, v5, s3
	v_add_co_ci_u32_e32 v14, vcc_lo, s2, v6, vcc_lo
	v_mul_f64 v[0:1], v[9:10], s[0:1]
	v_mul_f64 v[2:3], v[2:3], s[0:1]
	global_store_dwordx4 v[13:14], v[0:3], off
	global_load_dwordx4 v[0:3], v[7:8], off offset:1184
	ds_read_b128 v[5:8], v4 offset:5280
	ds_read_b128 v[9:12], v4 offset:6160
	s_waitcnt vmcnt(0) lgkmcnt(1)
	v_mul_f64 v[15:16], v[7:8], v[2:3]
	v_mul_f64 v[2:3], v[5:6], v[2:3]
	v_fma_f64 v[5:6], v[5:6], v[0:1], v[15:16]
	v_fma_f64 v[2:3], v[0:1], v[7:8], -v[2:3]
	v_mul_f64 v[0:1], v[5:6], s[0:1]
	v_mul_f64 v[2:3], v[2:3], s[0:1]
	v_add_co_u32 v5, vcc_lo, v13, s3
	v_add_co_ci_u32_e32 v6, vcc_lo, s2, v14, vcc_lo
	v_add_co_u32 v13, vcc_lo, 0x1800, v19
	v_add_co_ci_u32_e32 v14, vcc_lo, 0, v20, vcc_lo
	;; [unrolled: 2-line block ×3, first 2 shown]
	global_store_dwordx4 v[5:6], v[0:3], off
	global_load_dwordx4 v[0:3], v[13:14], off offset:16
	s_waitcnt vmcnt(0) lgkmcnt(0)
	v_mul_f64 v[7:8], v[11:12], v[2:3]
	v_mul_f64 v[2:3], v[9:10], v[2:3]
	v_fma_f64 v[7:8], v[9:10], v[0:1], v[7:8]
	v_fma_f64 v[2:3], v[0:1], v[11:12], -v[2:3]
	v_mul_f64 v[0:1], v[7:8], s[0:1]
	v_mul_f64 v[2:3], v[2:3], s[0:1]
	global_store_dwordx4 v[15:16], v[0:3], off
	global_load_dwordx4 v[0:3], v[13:14], off offset:896
	ds_read_b128 v[5:8], v4 offset:7040
	ds_read_b128 v[9:12], v4 offset:7920
	s_waitcnt vmcnt(0) lgkmcnt(1)
	v_mul_f64 v[17:18], v[7:8], v[2:3]
	v_mul_f64 v[2:3], v[5:6], v[2:3]
	v_fma_f64 v[5:6], v[5:6], v[0:1], v[17:18]
	v_fma_f64 v[2:3], v[0:1], v[7:8], -v[2:3]
	v_mul_f64 v[0:1], v[5:6], s[0:1]
	v_mul_f64 v[2:3], v[2:3], s[0:1]
	v_add_co_u32 v5, vcc_lo, v15, s3
	v_add_co_ci_u32_e32 v6, vcc_lo, s2, v16, vcc_lo
	global_store_dwordx4 v[5:6], v[0:3], off
	global_load_dwordx4 v[0:3], v[13:14], off offset:1776
	v_add_co_u32 v13, vcc_lo, v5, s3
	v_add_co_ci_u32_e32 v14, vcc_lo, s2, v6, vcc_lo
	v_add_co_u32 v15, vcc_lo, 0x2000, v19
	v_add_co_ci_u32_e32 v16, vcc_lo, 0, v20, vcc_lo
	s_waitcnt vmcnt(0) lgkmcnt(0)
	v_mul_f64 v[7:8], v[11:12], v[2:3]
	v_mul_f64 v[2:3], v[9:10], v[2:3]
	v_fma_f64 v[7:8], v[9:10], v[0:1], v[7:8]
	v_fma_f64 v[2:3], v[0:1], v[11:12], -v[2:3]
	v_mul_f64 v[0:1], v[7:8], s[0:1]
	v_mul_f64 v[2:3], v[2:3], s[0:1]
	global_store_dwordx4 v[13:14], v[0:3], off
	global_load_dwordx4 v[0:3], v[15:16], off offset:608
	ds_read_b128 v[5:8], v4 offset:8800
	ds_read_b128 v[9:12], v4 offset:9680
	s_waitcnt vmcnt(0) lgkmcnt(1)
	v_mul_f64 v[17:18], v[7:8], v[2:3]
	v_mul_f64 v[2:3], v[5:6], v[2:3]
	v_fma_f64 v[5:6], v[5:6], v[0:1], v[17:18]
	v_fma_f64 v[2:3], v[0:1], v[7:8], -v[2:3]
	v_mul_f64 v[0:1], v[5:6], s[0:1]
	v_mul_f64 v[2:3], v[2:3], s[0:1]
	v_add_co_u32 v5, vcc_lo, v13, s3
	v_add_co_ci_u32_e32 v6, vcc_lo, s2, v14, vcc_lo
	v_add_co_u32 v13, vcc_lo, v5, s3
	v_add_co_ci_u32_e32 v14, vcc_lo, s2, v6, vcc_lo
	global_store_dwordx4 v[5:6], v[0:3], off
	global_load_dwordx4 v[0:3], v[15:16], off offset:1488
	v_add_co_u32 v15, vcc_lo, 0x2800, v19
	v_add_co_ci_u32_e32 v16, vcc_lo, 0, v20, vcc_lo
	s_waitcnt vmcnt(0) lgkmcnt(0)
	v_mul_f64 v[7:8], v[11:12], v[2:3]
	v_mul_f64 v[2:3], v[9:10], v[2:3]
	v_fma_f64 v[7:8], v[9:10], v[0:1], v[7:8]
	v_fma_f64 v[2:3], v[0:1], v[11:12], -v[2:3]
	v_mul_f64 v[0:1], v[7:8], s[0:1]
	v_mul_f64 v[2:3], v[2:3], s[0:1]
	global_store_dwordx4 v[13:14], v[0:3], off
	global_load_dwordx4 v[0:3], v[15:16], off offset:320
	ds_read_b128 v[5:8], v4 offset:10560
	ds_read_b128 v[9:12], v4 offset:11440
	s_waitcnt vmcnt(0) lgkmcnt(1)
	v_mul_f64 v[17:18], v[7:8], v[2:3]
	v_mul_f64 v[2:3], v[5:6], v[2:3]
	v_fma_f64 v[5:6], v[5:6], v[0:1], v[17:18]
	v_fma_f64 v[2:3], v[0:1], v[7:8], -v[2:3]
	v_mul_f64 v[0:1], v[5:6], s[0:1]
	v_mul_f64 v[2:3], v[2:3], s[0:1]
	v_add_co_u32 v5, vcc_lo, v13, s3
	v_add_co_ci_u32_e32 v6, vcc_lo, s2, v14, vcc_lo
	v_add_co_u32 v13, vcc_lo, v5, s3
	v_add_co_ci_u32_e32 v14, vcc_lo, s2, v6, vcc_lo
	global_store_dwordx4 v[5:6], v[0:3], off
	global_load_dwordx4 v[0:3], v[15:16], off offset:1200
	v_add_co_u32 v15, vcc_lo, 0x3000, v19
	v_add_co_ci_u32_e32 v16, vcc_lo, 0, v20, vcc_lo
	s_waitcnt vmcnt(0) lgkmcnt(0)
	v_mul_f64 v[7:8], v[11:12], v[2:3]
	v_mul_f64 v[2:3], v[9:10], v[2:3]
	v_fma_f64 v[7:8], v[9:10], v[0:1], v[7:8]
	v_fma_f64 v[2:3], v[0:1], v[11:12], -v[2:3]
	v_mul_f64 v[0:1], v[7:8], s[0:1]
	v_mul_f64 v[2:3], v[2:3], s[0:1]
	global_store_dwordx4 v[13:14], v[0:3], off
	global_load_dwordx4 v[0:3], v[15:16], off offset:32
	ds_read_b128 v[5:8], v4 offset:12320
	ds_read_b128 v[9:12], v4 offset:13200
	s_waitcnt vmcnt(0) lgkmcnt(1)
	v_mul_f64 v[17:18], v[7:8], v[2:3]
	v_mul_f64 v[2:3], v[5:6], v[2:3]
	v_fma_f64 v[5:6], v[5:6], v[0:1], v[17:18]
	v_fma_f64 v[2:3], v[0:1], v[7:8], -v[2:3]
	v_mul_f64 v[0:1], v[5:6], s[0:1]
	v_mul_f64 v[2:3], v[2:3], s[0:1]
	v_add_co_u32 v5, vcc_lo, v13, s3
	v_add_co_ci_u32_e32 v6, vcc_lo, s2, v14, vcc_lo
	global_store_dwordx4 v[5:6], v[0:3], off
	global_load_dwordx4 v[0:3], v[15:16], off offset:912
	s_waitcnt vmcnt(0) lgkmcnt(0)
	v_mul_f64 v[7:8], v[11:12], v[2:3]
	v_mul_f64 v[2:3], v[9:10], v[2:3]
	v_fma_f64 v[7:8], v[9:10], v[0:1], v[7:8]
	v_fma_f64 v[2:3], v[0:1], v[11:12], -v[2:3]
	v_mul_f64 v[0:1], v[7:8], s[0:1]
	v_mul_f64 v[2:3], v[2:3], s[0:1]
	v_add_co_u32 v8, vcc_lo, v5, s3
	v_add_co_ci_u32_e32 v9, vcc_lo, s2, v6, vcc_lo
	ds_read_b128 v[4:7], v4 offset:14080
	global_store_dwordx4 v[8:9], v[0:3], off
	global_load_dwordx4 v[0:3], v[15:16], off offset:1792
	s_waitcnt vmcnt(0) lgkmcnt(0)
	v_mul_f64 v[10:11], v[6:7], v[2:3]
	v_mul_f64 v[2:3], v[4:5], v[2:3]
	v_fma_f64 v[4:5], v[4:5], v[0:1], v[10:11]
	v_fma_f64 v[2:3], v[0:1], v[6:7], -v[2:3]
	v_mul_f64 v[0:1], v[4:5], s[0:1]
	v_mul_f64 v[2:3], v[2:3], s[0:1]
	v_add_co_u32 v4, vcc_lo, v8, s3
	v_add_co_ci_u32_e32 v5, vcc_lo, s2, v9, vcc_lo
	global_store_dwordx4 v[4:5], v[0:3], off
.LBB0_23:
	s_endpgm
	.section	.rodata,"a",@progbits
	.p2align	6, 0x0
	.amdhsa_kernel bluestein_single_fwd_len935_dim1_dp_op_CI_CI
		.amdhsa_group_segment_fixed_size 44880
		.amdhsa_private_segment_fixed_size 704
		.amdhsa_kernarg_size 104
		.amdhsa_user_sgpr_count 6
		.amdhsa_user_sgpr_private_segment_buffer 1
		.amdhsa_user_sgpr_dispatch_ptr 0
		.amdhsa_user_sgpr_queue_ptr 0
		.amdhsa_user_sgpr_kernarg_segment_ptr 1
		.amdhsa_user_sgpr_dispatch_id 0
		.amdhsa_user_sgpr_flat_scratch_init 0
		.amdhsa_user_sgpr_private_segment_size 0
		.amdhsa_wavefront_size32 1
		.amdhsa_uses_dynamic_stack 0
		.amdhsa_system_sgpr_private_segment_wavefront_offset 1
		.amdhsa_system_sgpr_workgroup_id_x 1
		.amdhsa_system_sgpr_workgroup_id_y 0
		.amdhsa_system_sgpr_workgroup_id_z 0
		.amdhsa_system_sgpr_workgroup_info 0
		.amdhsa_system_vgpr_workitem_id 0
		.amdhsa_next_free_vgpr 256
		.amdhsa_next_free_sgpr 64
		.amdhsa_reserve_vcc 1
		.amdhsa_reserve_flat_scratch 0
		.amdhsa_float_round_mode_32 0
		.amdhsa_float_round_mode_16_64 0
		.amdhsa_float_denorm_mode_32 3
		.amdhsa_float_denorm_mode_16_64 3
		.amdhsa_dx10_clamp 1
		.amdhsa_ieee_mode 1
		.amdhsa_fp16_overflow 0
		.amdhsa_workgroup_processor_mode 1
		.amdhsa_memory_ordered 1
		.amdhsa_forward_progress 0
		.amdhsa_shared_vgpr_count 0
		.amdhsa_exception_fp_ieee_invalid_op 0
		.amdhsa_exception_fp_denorm_src 0
		.amdhsa_exception_fp_ieee_div_zero 0
		.amdhsa_exception_fp_ieee_overflow 0
		.amdhsa_exception_fp_ieee_underflow 0
		.amdhsa_exception_fp_ieee_inexact 0
		.amdhsa_exception_int_div_zero 0
	.end_amdhsa_kernel
	.text
.Lfunc_end0:
	.size	bluestein_single_fwd_len935_dim1_dp_op_CI_CI, .Lfunc_end0-bluestein_single_fwd_len935_dim1_dp_op_CI_CI
                                        ; -- End function
	.section	.AMDGPU.csdata,"",@progbits
; Kernel info:
; codeLenInByte = 35580
; NumSgprs: 66
; NumVgprs: 256
; ScratchSize: 704
; MemoryBound: 0
; FloatMode: 240
; IeeeMode: 1
; LDSByteSize: 44880 bytes/workgroup (compile time only)
; SGPRBlocks: 8
; VGPRBlocks: 31
; NumSGPRsForWavesPerEU: 66
; NumVGPRsForWavesPerEU: 256
; Occupancy: 4
; WaveLimiterHint : 1
; COMPUTE_PGM_RSRC2:SCRATCH_EN: 1
; COMPUTE_PGM_RSRC2:USER_SGPR: 6
; COMPUTE_PGM_RSRC2:TRAP_HANDLER: 0
; COMPUTE_PGM_RSRC2:TGID_X_EN: 1
; COMPUTE_PGM_RSRC2:TGID_Y_EN: 0
; COMPUTE_PGM_RSRC2:TGID_Z_EN: 0
; COMPUTE_PGM_RSRC2:TIDIG_COMP_CNT: 0
	.text
	.p2alignl 6, 3214868480
	.fill 48, 4, 3214868480
	.type	__hip_cuid_57568223116b57fe,@object ; @__hip_cuid_57568223116b57fe
	.section	.bss,"aw",@nobits
	.globl	__hip_cuid_57568223116b57fe
__hip_cuid_57568223116b57fe:
	.byte	0                               ; 0x0
	.size	__hip_cuid_57568223116b57fe, 1

	.ident	"AMD clang version 19.0.0git (https://github.com/RadeonOpenCompute/llvm-project roc-6.4.0 25133 c7fe45cf4b819c5991fe208aaa96edf142730f1d)"
	.section	".note.GNU-stack","",@progbits
	.addrsig
	.addrsig_sym __hip_cuid_57568223116b57fe
	.amdgpu_metadata
---
amdhsa.kernels:
  - .args:
      - .actual_access:  read_only
        .address_space:  global
        .offset:         0
        .size:           8
        .value_kind:     global_buffer
      - .actual_access:  read_only
        .address_space:  global
        .offset:         8
        .size:           8
        .value_kind:     global_buffer
      - .actual_access:  read_only
        .address_space:  global
        .offset:         16
        .size:           8
        .value_kind:     global_buffer
      - .actual_access:  read_only
        .address_space:  global
        .offset:         24
        .size:           8
        .value_kind:     global_buffer
      - .actual_access:  read_only
        .address_space:  global
        .offset:         32
        .size:           8
        .value_kind:     global_buffer
      - .offset:         40
        .size:           8
        .value_kind:     by_value
      - .address_space:  global
        .offset:         48
        .size:           8
        .value_kind:     global_buffer
      - .address_space:  global
        .offset:         56
        .size:           8
        .value_kind:     global_buffer
      - .address_space:  global
        .offset:         64
        .size:           8
        .value_kind:     global_buffer
      - .address_space:  global
        .offset:         72
        .size:           8
        .value_kind:     global_buffer
      - .offset:         80
        .size:           4
        .value_kind:     by_value
      - .address_space:  global
        .offset:         88
        .size:           8
        .value_kind:     global_buffer
      - .address_space:  global
        .offset:         96
        .size:           8
        .value_kind:     global_buffer
    .group_segment_fixed_size: 44880
    .kernarg_segment_align: 8
    .kernarg_segment_size: 104
    .language:       OpenCL C
    .language_version:
      - 2
      - 0
    .max_flat_workgroup_size: 255
    .name:           bluestein_single_fwd_len935_dim1_dp_op_CI_CI
    .private_segment_fixed_size: 704
    .sgpr_count:     66
    .sgpr_spill_count: 0
    .symbol:         bluestein_single_fwd_len935_dim1_dp_op_CI_CI.kd
    .uniform_work_group_size: 1
    .uses_dynamic_stack: false
    .vgpr_count:     256
    .vgpr_spill_count: 281
    .wavefront_size: 32
    .workgroup_processor_mode: 1
amdhsa.target:   amdgcn-amd-amdhsa--gfx1030
amdhsa.version:
  - 1
  - 2
...

	.end_amdgpu_metadata
